;; amdgpu-corpus repo=ROCm/rocFFT kind=compiled arch=gfx906 opt=O3
	.text
	.amdgcn_target "amdgcn-amd-amdhsa--gfx906"
	.amdhsa_code_object_version 6
	.protected	fft_rtc_back_len1632_factors_17_2_2_3_8_wgs_102_tpt_102_halfLds_dp_ip_CI_unitstride_sbrr_C2R_dirReg ; -- Begin function fft_rtc_back_len1632_factors_17_2_2_3_8_wgs_102_tpt_102_halfLds_dp_ip_CI_unitstride_sbrr_C2R_dirReg
	.globl	fft_rtc_back_len1632_factors_17_2_2_3_8_wgs_102_tpt_102_halfLds_dp_ip_CI_unitstride_sbrr_C2R_dirReg
	.p2align	8
	.type	fft_rtc_back_len1632_factors_17_2_2_3_8_wgs_102_tpt_102_halfLds_dp_ip_CI_unitstride_sbrr_C2R_dirReg,@function
fft_rtc_back_len1632_factors_17_2_2_3_8_wgs_102_tpt_102_halfLds_dp_ip_CI_unitstride_sbrr_C2R_dirReg: ; @fft_rtc_back_len1632_factors_17_2_2_3_8_wgs_102_tpt_102_halfLds_dp_ip_CI_unitstride_sbrr_C2R_dirReg
; %bb.0:
	s_load_dwordx2 s[12:13], s[4:5], 0x50
	s_load_dwordx4 s[8:11], s[4:5], 0x0
	s_load_dwordx2 s[2:3], s[4:5], 0x18
	v_mul_u32_u24_e32 v1, 0x283, v0
	v_add_u32_sdwa v5, s6, v1 dst_sel:DWORD dst_unused:UNUSED_PAD src0_sel:DWORD src1_sel:WORD_1
	v_mov_b32_e32 v3, 0
	s_waitcnt lgkmcnt(0)
	v_cmp_lt_u64_e64 s[0:1], s[10:11], 2
	v_mov_b32_e32 v1, 0
	v_mov_b32_e32 v6, v3
	s_and_b64 vcc, exec, s[0:1]
	v_mov_b32_e32 v2, 0
	s_cbranch_vccnz .LBB0_8
; %bb.1:
	s_load_dwordx2 s[0:1], s[4:5], 0x10
	s_add_u32 s6, s2, 8
	s_addc_u32 s7, s3, 0
	v_mov_b32_e32 v1, 0
	v_mov_b32_e32 v2, 0
	s_waitcnt lgkmcnt(0)
	s_add_u32 s14, s0, 8
	s_addc_u32 s15, s1, 0
	s_mov_b64 s[16:17], 1
.LBB0_2:                                ; =>This Inner Loop Header: Depth=1
	s_load_dwordx2 s[18:19], s[14:15], 0x0
                                        ; implicit-def: $vgpr7_vgpr8
	s_waitcnt lgkmcnt(0)
	v_or_b32_e32 v4, s19, v6
	v_cmp_ne_u64_e32 vcc, 0, v[3:4]
	s_and_saveexec_b64 s[0:1], vcc
	s_xor_b64 s[20:21], exec, s[0:1]
	s_cbranch_execz .LBB0_4
; %bb.3:                                ;   in Loop: Header=BB0_2 Depth=1
	v_cvt_f32_u32_e32 v4, s18
	v_cvt_f32_u32_e32 v7, s19
	s_sub_u32 s0, 0, s18
	s_subb_u32 s1, 0, s19
	v_mac_f32_e32 v4, 0x4f800000, v7
	v_rcp_f32_e32 v4, v4
	v_mul_f32_e32 v4, 0x5f7ffffc, v4
	v_mul_f32_e32 v7, 0x2f800000, v4
	v_trunc_f32_e32 v7, v7
	v_mac_f32_e32 v4, 0xcf800000, v7
	v_cvt_u32_f32_e32 v7, v7
	v_cvt_u32_f32_e32 v4, v4
	v_mul_lo_u32 v8, s0, v7
	v_mul_hi_u32 v9, s0, v4
	v_mul_lo_u32 v11, s1, v4
	v_mul_lo_u32 v10, s0, v4
	v_add_u32_e32 v8, v9, v8
	v_add_u32_e32 v8, v8, v11
	v_mul_hi_u32 v9, v4, v10
	v_mul_lo_u32 v11, v4, v8
	v_mul_hi_u32 v13, v4, v8
	v_mul_hi_u32 v12, v7, v10
	v_mul_lo_u32 v10, v7, v10
	v_mul_hi_u32 v14, v7, v8
	v_add_co_u32_e32 v9, vcc, v9, v11
	v_addc_co_u32_e32 v11, vcc, 0, v13, vcc
	v_mul_lo_u32 v8, v7, v8
	v_add_co_u32_e32 v9, vcc, v9, v10
	v_addc_co_u32_e32 v9, vcc, v11, v12, vcc
	v_addc_co_u32_e32 v10, vcc, 0, v14, vcc
	v_add_co_u32_e32 v8, vcc, v9, v8
	v_addc_co_u32_e32 v9, vcc, 0, v10, vcc
	v_add_co_u32_e32 v4, vcc, v4, v8
	v_addc_co_u32_e32 v7, vcc, v7, v9, vcc
	v_mul_lo_u32 v8, s0, v7
	v_mul_hi_u32 v9, s0, v4
	v_mul_lo_u32 v10, s1, v4
	v_mul_lo_u32 v11, s0, v4
	v_add_u32_e32 v8, v9, v8
	v_add_u32_e32 v8, v8, v10
	v_mul_lo_u32 v12, v4, v8
	v_mul_hi_u32 v13, v4, v11
	v_mul_hi_u32 v14, v4, v8
	;; [unrolled: 1-line block ×3, first 2 shown]
	v_mul_lo_u32 v11, v7, v11
	v_mul_hi_u32 v9, v7, v8
	v_add_co_u32_e32 v12, vcc, v13, v12
	v_addc_co_u32_e32 v13, vcc, 0, v14, vcc
	v_mul_lo_u32 v8, v7, v8
	v_add_co_u32_e32 v11, vcc, v12, v11
	v_addc_co_u32_e32 v10, vcc, v13, v10, vcc
	v_addc_co_u32_e32 v9, vcc, 0, v9, vcc
	v_add_co_u32_e32 v8, vcc, v10, v8
	v_addc_co_u32_e32 v9, vcc, 0, v9, vcc
	v_add_co_u32_e32 v4, vcc, v4, v8
	v_addc_co_u32_e32 v9, vcc, v7, v9, vcc
	v_mad_u64_u32 v[7:8], s[0:1], v5, v9, 0
	v_mul_hi_u32 v10, v5, v4
	v_add_co_u32_e32 v11, vcc, v10, v7
	v_addc_co_u32_e32 v12, vcc, 0, v8, vcc
	v_mad_u64_u32 v[7:8], s[0:1], v6, v4, 0
	v_mad_u64_u32 v[9:10], s[0:1], v6, v9, 0
	v_add_co_u32_e32 v4, vcc, v11, v7
	v_addc_co_u32_e32 v4, vcc, v12, v8, vcc
	v_addc_co_u32_e32 v7, vcc, 0, v10, vcc
	v_add_co_u32_e32 v4, vcc, v4, v9
	v_addc_co_u32_e32 v9, vcc, 0, v7, vcc
	v_mul_lo_u32 v10, s19, v4
	v_mul_lo_u32 v11, s18, v9
	v_mad_u64_u32 v[7:8], s[0:1], s18, v4, 0
	v_add3_u32 v8, v8, v11, v10
	v_sub_u32_e32 v10, v6, v8
	v_mov_b32_e32 v11, s19
	v_sub_co_u32_e32 v7, vcc, v5, v7
	v_subb_co_u32_e64 v10, s[0:1], v10, v11, vcc
	v_subrev_co_u32_e64 v11, s[0:1], s18, v7
	v_subbrev_co_u32_e64 v10, s[0:1], 0, v10, s[0:1]
	v_cmp_le_u32_e64 s[0:1], s19, v10
	v_cndmask_b32_e64 v12, 0, -1, s[0:1]
	v_cmp_le_u32_e64 s[0:1], s18, v11
	v_cndmask_b32_e64 v11, 0, -1, s[0:1]
	v_cmp_eq_u32_e64 s[0:1], s19, v10
	v_cndmask_b32_e64 v10, v12, v11, s[0:1]
	v_add_co_u32_e64 v11, s[0:1], 2, v4
	v_addc_co_u32_e64 v12, s[0:1], 0, v9, s[0:1]
	v_add_co_u32_e64 v13, s[0:1], 1, v4
	v_addc_co_u32_e64 v14, s[0:1], 0, v9, s[0:1]
	v_subb_co_u32_e32 v8, vcc, v6, v8, vcc
	v_cmp_ne_u32_e64 s[0:1], 0, v10
	v_cmp_le_u32_e32 vcc, s19, v8
	v_cndmask_b32_e64 v10, v14, v12, s[0:1]
	v_cndmask_b32_e64 v12, 0, -1, vcc
	v_cmp_le_u32_e32 vcc, s18, v7
	v_cndmask_b32_e64 v7, 0, -1, vcc
	v_cmp_eq_u32_e32 vcc, s19, v8
	v_cndmask_b32_e32 v7, v12, v7, vcc
	v_cmp_ne_u32_e32 vcc, 0, v7
	v_cndmask_b32_e64 v7, v13, v11, s[0:1]
	v_cndmask_b32_e32 v8, v9, v10, vcc
	v_cndmask_b32_e32 v7, v4, v7, vcc
.LBB0_4:                                ;   in Loop: Header=BB0_2 Depth=1
	s_andn2_saveexec_b64 s[0:1], s[20:21]
	s_cbranch_execz .LBB0_6
; %bb.5:                                ;   in Loop: Header=BB0_2 Depth=1
	v_cvt_f32_u32_e32 v4, s18
	s_sub_i32 s20, 0, s18
	v_rcp_iflag_f32_e32 v4, v4
	v_mul_f32_e32 v4, 0x4f7ffffe, v4
	v_cvt_u32_f32_e32 v4, v4
	v_mul_lo_u32 v7, s20, v4
	v_mul_hi_u32 v7, v4, v7
	v_add_u32_e32 v4, v4, v7
	v_mul_hi_u32 v4, v5, v4
	v_mul_lo_u32 v7, v4, s18
	v_add_u32_e32 v8, 1, v4
	v_sub_u32_e32 v7, v5, v7
	v_subrev_u32_e32 v9, s18, v7
	v_cmp_le_u32_e32 vcc, s18, v7
	v_cndmask_b32_e32 v7, v7, v9, vcc
	v_cndmask_b32_e32 v4, v4, v8, vcc
	v_add_u32_e32 v8, 1, v4
	v_cmp_le_u32_e32 vcc, s18, v7
	v_cndmask_b32_e32 v7, v4, v8, vcc
	v_mov_b32_e32 v8, v3
.LBB0_6:                                ;   in Loop: Header=BB0_2 Depth=1
	s_or_b64 exec, exec, s[0:1]
	v_mul_lo_u32 v4, v8, s18
	v_mul_lo_u32 v11, v7, s19
	v_mad_u64_u32 v[9:10], s[0:1], v7, s18, 0
	s_load_dwordx2 s[0:1], s[6:7], 0x0
	s_add_u32 s16, s16, 1
	v_add3_u32 v4, v10, v11, v4
	v_sub_co_u32_e32 v5, vcc, v5, v9
	v_subb_co_u32_e32 v4, vcc, v6, v4, vcc
	s_waitcnt lgkmcnt(0)
	v_mul_lo_u32 v4, s0, v4
	v_mul_lo_u32 v6, s1, v5
	v_mad_u64_u32 v[1:2], s[0:1], s0, v5, v[1:2]
	s_addc_u32 s17, s17, 0
	s_add_u32 s6, s6, 8
	v_add3_u32 v2, v6, v2, v4
	v_mov_b32_e32 v4, s10
	v_mov_b32_e32 v5, s11
	s_addc_u32 s7, s7, 0
	v_cmp_ge_u64_e32 vcc, s[16:17], v[4:5]
	s_add_u32 s14, s14, 8
	s_addc_u32 s15, s15, 0
	s_cbranch_vccnz .LBB0_9
; %bb.7:                                ;   in Loop: Header=BB0_2 Depth=1
	v_mov_b32_e32 v5, v7
	v_mov_b32_e32 v6, v8
	s_branch .LBB0_2
.LBB0_8:
	v_mov_b32_e32 v8, v6
	v_mov_b32_e32 v7, v5
.LBB0_9:
	s_lshl_b64 s[0:1], s[10:11], 3
	s_add_u32 s0, s2, s0
	s_addc_u32 s1, s3, s1
	s_load_dwordx2 s[2:3], s[0:1], 0x0
	s_load_dwordx2 s[6:7], s[4:5], 0x20
	s_waitcnt lgkmcnt(0)
	v_mad_u64_u32 v[1:2], s[0:1], s2, v7, v[1:2]
	v_mul_lo_u32 v3, s2, v8
	v_mul_lo_u32 v4, s3, v7
	s_mov_b32 s0, 0x2828283
	v_mul_hi_u32 v5, v0, s0
	v_cmp_gt_u64_e64 s[0:1], s[6:7], v[7:8]
	v_add3_u32 v2, v4, v2, v3
	v_lshlrev_b64 v[110:111], 4, v[1:2]
	v_mul_u32_u24_e32 v3, 0x66, v5
	v_sub_u32_e32 v108, v0, v3
	s_and_saveexec_b64 s[2:3], s[0:1]
	s_cbranch_execz .LBB0_13
; %bb.10:
	v_mov_b32_e32 v109, 0
	v_mov_b32_e32 v0, s13
	v_add_co_u32_e32 v1, vcc, s12, v110
	v_lshlrev_b64 v[2:3], 4, v[108:109]
	v_addc_co_u32_e32 v0, vcc, v0, v111, vcc
	v_add_co_u32_e32 v42, vcc, v1, v2
	v_addc_co_u32_e32 v43, vcc, v0, v3, vcc
	s_movk_i32 s4, 0x1000
	v_add_co_u32_e32 v26, vcc, s4, v42
	s_movk_i32 s5, 0x2000
	v_addc_co_u32_e32 v27, vcc, 0, v43, vcc
	v_add_co_u32_e32 v44, vcc, s5, v42
	v_addc_co_u32_e32 v45, vcc, 0, v43, vcc
	s_movk_i32 s4, 0x3000
	v_add_co_u32_e32 v66, vcc, s4, v42
	s_movk_i32 s5, 0x4000
	v_addc_co_u32_e32 v67, vcc, 0, v43, vcc
	v_add_co_u32_e32 v68, vcc, s5, v42
	v_addc_co_u32_e32 v69, vcc, 0, v43, vcc
	v_add_co_u32_e32 v70, vcc, 0x5000, v42
	global_load_dwordx4 v[2:5], v[42:43], off
	global_load_dwordx4 v[6:9], v[42:43], off offset:1632
	global_load_dwordx4 v[10:13], v[42:43], off offset:3264
	;; [unrolled: 1-line block ×5, first 2 shown]
	s_nop 0
	global_load_dwordx4 v[26:29], v[44:45], off offset:1600
	global_load_dwordx4 v[30:33], v[44:45], off offset:3232
	;; [unrolled: 1-line block ×4, first 2 shown]
	v_addc_co_u32_e32 v71, vcc, 0, v43, vcc
	global_load_dwordx4 v[42:45], v[66:67], off offset:4032
	global_load_dwordx4 v[46:49], v[68:69], off offset:1568
	global_load_dwordx4 v[50:53], v[68:69], off offset:3200
	global_load_dwordx4 v[54:57], v[70:71], off offset:736
	global_load_dwordx4 v[58:61], v[70:71], off offset:2368
	global_load_dwordx4 v[62:65], v[70:71], off offset:4000
	s_movk_i32 s4, 0x65
	v_lshl_add_u32 v66, v108, 4, 0
	v_cmp_eq_u32_e32 vcc, s4, v108
	s_waitcnt vmcnt(15)
	ds_write_b128 v66, v[2:5]
	s_waitcnt vmcnt(14)
	ds_write_b128 v66, v[6:9] offset:1632
	s_waitcnt vmcnt(13)
	ds_write_b128 v66, v[10:13] offset:3264
	;; [unrolled: 2-line block ×15, first 2 shown]
	s_and_saveexec_b64 s[4:5], vcc
	s_cbranch_execz .LBB0_12
; %bb.11:
	v_add_co_u32_e32 v1, vcc, 0x6000, v1
	v_addc_co_u32_e32 v2, vcc, 0, v0, vcc
	global_load_dwordx4 v[0:3], v[1:2], off offset:1536
	v_mov_b32_e32 v108, 0x65
	s_waitcnt vmcnt(0)
	ds_write_b128 v109, v[0:3] offset:26112
.LBB0_12:
	s_or_b64 exec, exec, s[4:5]
.LBB0_13:
	s_or_b64 exec, exec, s[2:3]
	v_lshlrev_b32_e32 v0, 4, v108
	v_add_u32_e32 v214, 0, v0
	s_waitcnt lgkmcnt(0)
	s_barrier
	v_sub_u32_e32 v10, 0, v0
	ds_read_b64 v[6:7], v214
	ds_read_b64 v[8:9], v10 offset:26112
	s_add_u32 s4, s8, 0x64f0
	s_addc_u32 s5, s9, 0
	v_cmp_ne_u32_e32 vcc, 0, v108
                                        ; implicit-def: $vgpr4_vgpr5
	s_waitcnt lgkmcnt(0)
	v_add_f64 v[0:1], v[6:7], v[8:9]
	v_add_f64 v[2:3], v[6:7], -v[8:9]
	s_and_saveexec_b64 s[2:3], vcc
	s_xor_b64 s[2:3], exec, s[2:3]
	s_cbranch_execz .LBB0_15
; %bb.14:
	v_mov_b32_e32 v109, 0
	v_lshlrev_b64 v[0:1], 4, v[108:109]
	v_mov_b32_e32 v2, s5
	v_add_co_u32_e32 v0, vcc, s4, v0
	v_addc_co_u32_e32 v1, vcc, v2, v1, vcc
	global_load_dwordx4 v[2:5], v[0:1], off
	ds_read_b64 v[0:1], v10 offset:26120
	ds_read_b64 v[11:12], v214 offset:8
	v_add_f64 v[13:14], v[6:7], v[8:9]
	v_add_f64 v[8:9], v[6:7], -v[8:9]
	s_waitcnt lgkmcnt(0)
	v_add_f64 v[15:16], v[0:1], v[11:12]
	v_add_f64 v[0:1], v[11:12], -v[0:1]
	s_waitcnt vmcnt(0)
	v_fma_f64 v[6:7], -v[8:9], v[4:5], v[13:14]
	v_fma_f64 v[11:12], v[15:16], v[4:5], -v[0:1]
	v_fma_f64 v[13:14], v[8:9], v[4:5], v[13:14]
	v_fma_f64 v[17:18], v[15:16], v[4:5], v[0:1]
	;; [unrolled: 1-line block ×4, first 2 shown]
	v_fma_f64 v[0:1], -v[15:16], v[2:3], v[13:14]
	v_fma_f64 v[2:3], v[8:9], v[2:3], v[17:18]
	ds_write_b128 v10, v[4:7] offset:26112
	v_mov_b32_e32 v4, v108
	v_mov_b32_e32 v5, v109
.LBB0_15:
	s_andn2_saveexec_b64 s[2:3], s[2:3]
	s_cbranch_execz .LBB0_17
; %bb.16:
	v_mov_b32_e32 v8, 0
	ds_read_b128 v[4:7], v8 offset:13056
	s_waitcnt lgkmcnt(0)
	v_add_f64 v[11:12], v[4:5], v[4:5]
	v_mul_f64 v[13:14], v[6:7], -2.0
	v_mov_b32_e32 v4, 0
	v_mov_b32_e32 v5, 0
	ds_write_b128 v8, v[11:14] offset:13056
.LBB0_17:
	s_or_b64 exec, exec, s[2:3]
	v_lshlrev_b64 v[4:5], 4, v[4:5]
	v_mov_b32_e32 v6, s5
	v_add_co_u32_e32 v23, vcc, s4, v4
	v_addc_co_u32_e32 v24, vcc, v6, v5, vcc
	global_load_dwordx4 v[4:7], v[23:24], off offset:1632
	global_load_dwordx4 v[11:14], v[23:24], off offset:3264
	s_movk_i32 s2, 0x1000
	v_add_co_u32_e32 v25, vcc, s2, v23
	ds_write_b128 v214, v[0:3]
	v_addc_co_u32_e32 v26, vcc, 0, v24, vcc
	ds_read_b128 v[0:3], v214 offset:1632
	ds_read_b128 v[15:18], v10 offset:24480
	global_load_dwordx4 v[19:22], v[25:26], off offset:800
	s_movk_i32 s2, 0x2000
	s_mov_b32 s30, 0x5d8e7cdc
	s_mov_b32 s31, 0xbfd71e95
	s_waitcnt lgkmcnt(0)
	v_add_f64 v[8:9], v[0:1], v[15:16]
	v_add_f64 v[27:28], v[17:18], v[2:3]
	v_add_f64 v[15:16], v[0:1], -v[15:16]
	v_add_f64 v[0:1], v[2:3], -v[17:18]
	s_mov_b32 s6, 0x75d4884
	s_mov_b32 s14, 0x2a9d6da3
	s_mov_b32 s7, 0x3fe7a5f6
	s_mov_b32 s15, 0xbfe58eea
	s_mov_b32 s4, 0x2b2883cd
	s_mov_b32 s40, 0x7c9e640b
	s_mov_b32 s5, 0x3fdc86fa
	s_mov_b32 s41, 0xbfeca52d
	s_mov_b32 s10, 0x3259b75e
	s_mov_b32 s18, 0xeb564b22
	s_mov_b32 s11, 0x3fb79ee6
	s_mov_b32 s19, 0xbfefdd0d
	s_mov_b32 s16, 0xc61f0d01
	s_mov_b32 s24, 0x923c349f
	s_mov_b32 s17, 0xbfd183b1
	s_mov_b32 s25, 0xbfeec746
	s_mov_b32 s20, 0x6ed5f1bb
	s_mov_b32 s34, 0x6c9a05f6
	s_mov_b32 s21, 0xbfe348c8
	s_mov_b32 s35, 0xbfe9895b
	s_mov_b32 s22, 0x910ea3b9
	s_mov_b32 s36, 0x4363dd80
	s_mov_b32 s23, 0xbfeb34fa
	s_mov_b32 s37, 0xbfe0d888
	s_mov_b32 s28, 0x7faef3
	s_mov_b32 s38, 0xacd6c6b4
	s_mov_b32 s29, 0xbfef7484
	s_mov_b32 s39, 0xbfc7851a
	s_movk_i32 s26, 0x60
	s_waitcnt vmcnt(2)
	v_fma_f64 v[2:3], v[15:16], v[6:7], v[8:9]
	v_fma_f64 v[17:18], v[27:28], v[6:7], v[0:1]
	v_fma_f64 v[8:9], -v[15:16], v[6:7], v[8:9]
	v_fma_f64 v[29:30], v[27:28], v[6:7], -v[0:1]
	v_fma_f64 v[0:1], -v[27:28], v[4:5], v[2:3]
	v_fma_f64 v[2:3], v[15:16], v[4:5], v[17:18]
	v_fma_f64 v[6:7], v[27:28], v[4:5], v[8:9]
	;; [unrolled: 1-line block ×3, first 2 shown]
	ds_write_b128 v214, v[0:3] offset:1632
	ds_write_b128 v10, v[6:9] offset:24480
	ds_read_b128 v[0:3], v214 offset:3264
	ds_read_b128 v[4:7], v10 offset:22848
	global_load_dwordx4 v[15:18], v[25:26], off offset:2432
	s_waitcnt lgkmcnt(0)
	v_add_f64 v[8:9], v[0:1], v[4:5]
	v_add_f64 v[27:28], v[6:7], v[2:3]
	v_add_f64 v[29:30], v[0:1], -v[4:5]
	v_add_f64 v[0:1], v[2:3], -v[6:7]
	s_waitcnt vmcnt(2)
	v_fma_f64 v[2:3], v[29:30], v[13:14], v[8:9]
	v_fma_f64 v[4:5], v[27:28], v[13:14], v[0:1]
	v_fma_f64 v[6:7], -v[29:30], v[13:14], v[8:9]
	v_fma_f64 v[8:9], v[27:28], v[13:14], -v[0:1]
	v_fma_f64 v[0:1], -v[27:28], v[11:12], v[2:3]
	v_fma_f64 v[2:3], v[29:30], v[11:12], v[4:5]
	v_fma_f64 v[4:5], v[27:28], v[11:12], v[6:7]
	;; [unrolled: 1-line block ×3, first 2 shown]
	ds_write_b128 v214, v[0:3] offset:3264
	ds_write_b128 v10, v[4:7] offset:22848
	ds_read_b128 v[0:3], v214 offset:4896
	ds_read_b128 v[4:7], v10 offset:21216
	global_load_dwordx4 v[11:14], v[25:26], off offset:4064
	s_waitcnt lgkmcnt(0)
	v_add_f64 v[8:9], v[0:1], v[4:5]
	v_add_f64 v[25:26], v[6:7], v[2:3]
	v_add_f64 v[27:28], v[0:1], -v[4:5]
	v_add_f64 v[0:1], v[2:3], -v[6:7]
	s_waitcnt vmcnt(2)
	v_fma_f64 v[2:3], v[27:28], v[21:22], v[8:9]
	v_fma_f64 v[4:5], v[25:26], v[21:22], v[0:1]
	v_fma_f64 v[6:7], -v[27:28], v[21:22], v[8:9]
	v_fma_f64 v[8:9], v[25:26], v[21:22], -v[0:1]
	v_fma_f64 v[0:1], -v[25:26], v[19:20], v[2:3]
	v_fma_f64 v[2:3], v[27:28], v[19:20], v[4:5]
	v_fma_f64 v[4:5], v[25:26], v[19:20], v[6:7]
	;; [unrolled: 1-line block ×3, first 2 shown]
	v_add_co_u32_e32 v8, vcc, s2, v23
	ds_write_b128 v214, v[0:3] offset:4896
	ds_write_b128 v10, v[4:7] offset:21216
	v_addc_co_u32_e32 v9, vcc, 0, v24, vcc
	ds_read_b128 v[0:3], v214 offset:6528
	ds_read_b128 v[4:7], v10 offset:19584
	global_load_dwordx4 v[19:22], v[8:9], off offset:1600
	s_mov_b32 s2, 0x370991
	s_mov_b32 s3, 0x3fedd6d0
	v_cmp_gt_u32_e32 vcc, s26, v108
	s_waitcnt lgkmcnt(0)
	v_add_f64 v[23:24], v[0:1], v[4:5]
	v_add_f64 v[25:26], v[6:7], v[2:3]
	v_add_f64 v[27:28], v[0:1], -v[4:5]
	v_add_f64 v[0:1], v[2:3], -v[6:7]
	s_waitcnt vmcnt(2)
	v_fma_f64 v[2:3], v[27:28], v[17:18], v[23:24]
	v_fma_f64 v[4:5], v[25:26], v[17:18], v[0:1]
	v_fma_f64 v[6:7], -v[27:28], v[17:18], v[23:24]
	v_fma_f64 v[17:18], v[25:26], v[17:18], -v[0:1]
	v_fma_f64 v[0:1], -v[25:26], v[15:16], v[2:3]
	v_fma_f64 v[2:3], v[27:28], v[15:16], v[4:5]
	v_fma_f64 v[4:5], v[25:26], v[15:16], v[6:7]
	;; [unrolled: 1-line block ×3, first 2 shown]
	ds_write_b128 v214, v[0:3] offset:6528
	ds_write_b128 v10, v[4:7] offset:19584
	ds_read_b128 v[0:3], v214 offset:8160
	ds_read_b128 v[4:7], v10 offset:17952
	global_load_dwordx4 v[15:18], v[8:9], off offset:3232
	s_waitcnt lgkmcnt(0)
	v_add_f64 v[8:9], v[0:1], v[4:5]
	v_add_f64 v[23:24], v[6:7], v[2:3]
	v_add_f64 v[25:26], v[0:1], -v[4:5]
	v_add_f64 v[0:1], v[2:3], -v[6:7]
	s_waitcnt vmcnt(2)
	v_fma_f64 v[2:3], v[25:26], v[13:14], v[8:9]
	v_fma_f64 v[4:5], v[23:24], v[13:14], v[0:1]
	v_fma_f64 v[6:7], -v[25:26], v[13:14], v[8:9]
	v_fma_f64 v[8:9], v[23:24], v[13:14], -v[0:1]
	v_fma_f64 v[0:1], -v[23:24], v[11:12], v[2:3]
	v_fma_f64 v[2:3], v[25:26], v[11:12], v[4:5]
	v_fma_f64 v[4:5], v[23:24], v[11:12], v[6:7]
	v_fma_f64 v[6:7], v[25:26], v[11:12], v[8:9]
	ds_write_b128 v214, v[0:3] offset:8160
	ds_write_b128 v10, v[4:7] offset:17952
	ds_read_b128 v[0:3], v214 offset:9792
	ds_read_b128 v[4:7], v10 offset:16320
	s_waitcnt lgkmcnt(0)
	v_add_f64 v[8:9], v[0:1], v[4:5]
	v_add_f64 v[11:12], v[6:7], v[2:3]
	v_add_f64 v[13:14], v[0:1], -v[4:5]
	v_add_f64 v[0:1], v[2:3], -v[6:7]
	s_waitcnt vmcnt(1)
	v_fma_f64 v[2:3], v[13:14], v[21:22], v[8:9]
	v_fma_f64 v[4:5], v[11:12], v[21:22], v[0:1]
	v_fma_f64 v[6:7], -v[13:14], v[21:22], v[8:9]
	v_fma_f64 v[8:9], v[11:12], v[21:22], -v[0:1]
	v_fma_f64 v[0:1], -v[11:12], v[19:20], v[2:3]
	v_fma_f64 v[2:3], v[13:14], v[19:20], v[4:5]
	v_fma_f64 v[4:5], v[11:12], v[19:20], v[6:7]
	;; [unrolled: 1-line block ×3, first 2 shown]
	ds_write_b128 v214, v[0:3] offset:9792
	ds_write_b128 v10, v[4:7] offset:16320
	ds_read_b128 v[0:3], v214 offset:11424
	ds_read_b128 v[4:7], v10 offset:14688
	s_waitcnt lgkmcnt(0)
	v_add_f64 v[8:9], v[0:1], v[4:5]
	v_add_f64 v[11:12], v[6:7], v[2:3]
	v_add_f64 v[13:14], v[0:1], -v[4:5]
	v_add_f64 v[0:1], v[2:3], -v[6:7]
	s_waitcnt vmcnt(0)
	v_fma_f64 v[2:3], v[13:14], v[17:18], v[8:9]
	v_fma_f64 v[4:5], v[11:12], v[17:18], v[0:1]
	v_fma_f64 v[6:7], -v[13:14], v[17:18], v[8:9]
	v_fma_f64 v[8:9], v[11:12], v[17:18], -v[0:1]
	v_fma_f64 v[0:1], -v[11:12], v[15:16], v[2:3]
	v_fma_f64 v[2:3], v[13:14], v[15:16], v[4:5]
	v_fma_f64 v[4:5], v[11:12], v[15:16], v[6:7]
	;; [unrolled: 1-line block ×3, first 2 shown]
	ds_write_b128 v214, v[0:3] offset:11424
	ds_write_b128 v10, v[4:7] offset:14688
	s_waitcnt lgkmcnt(0)
	s_barrier
	s_barrier
	ds_read_b128 v[4:7], v214 offset:24576
	ds_read_b128 v[68:71], v214 offset:1536
	ds_read_b128 v[28:31], v214
	ds_read_b128 v[64:67], v214 offset:3072
	ds_read_b128 v[60:63], v214 offset:4608
	;; [unrolled: 1-line block ×14, first 2 shown]
	s_waitcnt lgkmcnt(14)
	v_add_f64 v[186:187], v[70:71], -v[6:7]
	v_add_f64 v[184:185], v[70:71], v[6:7]
	v_add_f64 v[120:121], v[68:69], v[4:5]
	s_waitcnt lgkmcnt(11)
	v_add_f64 v[176:177], v[66:67], -v[10:11]
	v_add_f64 v[206:207], v[68:69], -v[4:5]
	v_add_f64 v[182:183], v[66:67], v[10:11]
	v_add_f64 v[124:125], v[64:65], v[8:9]
	v_add_f64 v[202:203], v[64:65], -v[8:9]
	v_mul_f64 v[134:135], v[186:187], s[30:31]
	v_mul_f64 v[148:149], v[184:185], s[2:3]
	s_waitcnt lgkmcnt(10)
	v_add_f64 v[172:173], v[62:63], -v[14:15]
	v_add_f64 v[178:179], v[62:63], v[14:15]
	v_mul_f64 v[136:137], v[176:177], s[14:15]
	v_mul_f64 v[146:147], v[182:183], s[6:7]
	v_add_f64 v[118:119], v[60:61], v[12:13]
	v_add_f64 v[200:201], v[60:61], -v[12:13]
	v_fma_f64 v[0:1], v[120:121], s[2:3], -v[134:135]
	v_fma_f64 v[2:3], v[206:207], s[30:31], v[148:149]
	s_waitcnt lgkmcnt(7)
	v_add_f64 v[166:167], v[58:59], -v[18:19]
	v_add_f64 v[168:169], v[58:59], v[18:19]
	v_mul_f64 v[126:127], v[172:173], s[40:41]
	v_mul_f64 v[138:139], v[178:179], s[4:5]
	v_fma_f64 v[72:73], v[124:125], s[6:7], -v[136:137]
	v_fma_f64 v[74:75], v[202:203], s[14:15], v[146:147]
	v_add_f64 v[0:1], v[28:29], v[0:1]
	v_add_f64 v[2:3], v[30:31], v[2:3]
	v_add_f64 v[116:117], v[56:57], v[16:17]
	v_add_f64 v[196:197], v[56:57], -v[16:17]
	s_waitcnt lgkmcnt(6)
	v_add_f64 v[162:163], v[54:55], -v[22:23]
	v_add_f64 v[160:161], v[54:55], v[22:23]
	v_mul_f64 v[128:129], v[166:167], s[18:19]
	v_mul_f64 v[140:141], v[168:169], s[10:11]
	v_fma_f64 v[76:77], v[118:119], s[4:5], -v[126:127]
	v_fma_f64 v[78:79], v[200:201], s[40:41], v[138:139]
	v_add_f64 v[0:1], v[72:73], v[0:1]
	v_add_f64 v[2:3], v[74:75], v[2:3]
	v_add_f64 v[114:115], v[52:53], v[20:21]
	v_add_f64 v[190:191], v[52:53], -v[20:21]
	s_waitcnt lgkmcnt(3)
	v_add_f64 v[164:165], v[50:51], -v[26:27]
	v_add_f64 v[170:171], v[50:51], v[26:27]
	v_mul_f64 v[130:131], v[162:163], s[24:25]
	v_mul_f64 v[142:143], v[160:161], s[16:17]
	v_fma_f64 v[72:73], v[116:117], s[10:11], -v[128:129]
	v_fma_f64 v[74:75], v[196:197], s[18:19], v[140:141]
	v_add_f64 v[0:1], v[76:77], v[0:1]
	v_add_f64 v[2:3], v[78:79], v[2:3]
	v_add_f64 v[112:113], v[48:49], v[24:25]
	v_add_f64 v[194:195], v[48:49], -v[24:25]
	s_waitcnt lgkmcnt(2)
	v_add_f64 v[174:175], v[46:47], -v[34:35]
	v_add_f64 v[180:181], v[46:47], v[34:35]
	v_mul_f64 v[132:133], v[164:165], s[34:35]
	v_mul_f64 v[144:145], v[170:171], s[20:21]
	v_fma_f64 v[76:77], v[114:115], s[16:17], -v[130:131]
	v_fma_f64 v[78:79], v[190:191], s[24:25], v[142:143]
	v_add_f64 v[0:1], v[72:73], v[0:1]
	v_add_f64 v[2:3], v[74:75], v[2:3]
	v_add_f64 v[122:123], v[44:45], v[32:33]
	v_add_f64 v[198:199], v[44:45], -v[32:33]
	s_waitcnt lgkmcnt(0)
	v_add_f64 v[188:189], v[42:43], -v[38:39]
	v_add_f64 v[192:193], v[42:43], v[38:39]
	v_mul_f64 v[152:153], v[174:175], s[36:37]
	v_mul_f64 v[156:157], v[180:181], s[22:23]
	v_fma_f64 v[72:73], v[112:113], s[20:21], -v[132:133]
	v_fma_f64 v[74:75], v[194:195], s[34:35], v[144:145]
	v_add_f64 v[0:1], v[76:77], v[0:1]
	v_add_f64 v[2:3], v[78:79], v[2:3]
	v_add_f64 v[150:151], v[40:41], v[36:37]
	v_add_f64 v[210:211], v[40:41], -v[36:37]
	v_mul_f64 v[154:155], v[188:189], s[38:39]
	v_mul_f64 v[158:159], v[192:193], s[28:29]
	v_fma_f64 v[76:77], v[122:123], s[22:23], -v[152:153]
	v_fma_f64 v[78:79], v[198:199], s[36:37], v[156:157]
	v_add_f64 v[0:1], v[72:73], v[0:1]
	v_add_f64 v[2:3], v[74:75], v[2:3]
	s_barrier
	v_fma_f64 v[72:73], v[150:151], s[28:29], -v[154:155]
	v_fma_f64 v[74:75], v[210:211], s[38:39], v[158:159]
	v_add_f64 v[0:1], v[76:77], v[0:1]
	v_add_f64 v[2:3], v[78:79], v[2:3]
	;; [unrolled: 1-line block ×4, first 2 shown]
	s_and_saveexec_b64 s[26:27], vcc
	s_cbranch_execz .LBB0_19
; %bb.18:
	v_mul_f64 v[74:75], v[206:207], s[38:39]
	v_mul_f64 v[82:83], v[186:187], s[38:39]
	s_mov_b32 s43, 0x3fd71e95
	s_mov_b32 s42, s30
	v_mul_f64 v[78:79], v[202:203], s[42:43]
	v_mul_f64 v[92:93], v[176:177], s[42:43]
	v_mul_f64 v[88:89], v[200:201], s[36:37]
	v_mul_f64 v[100:101], v[172:173], s[36:37]
	v_fma_f64 v[84:85], v[184:185], s[28:29], v[74:75]
	v_fma_f64 v[94:95], v[120:121], s[28:29], -v[82:83]
	s_mov_b32 s47, 0x3fe58eea
	s_mov_b32 s46, s14
	v_fma_f64 v[90:91], v[182:183], s[2:3], v[78:79]
	v_fma_f64 v[102:103], v[124:125], s[2:3], -v[92:93]
	v_mul_f64 v[96:97], v[196:197], s[46:47]
	v_fma_f64 v[98:99], v[178:179], s[22:23], v[88:89]
	v_add_f64 v[84:85], v[30:31], v[84:85]
	v_add_f64 v[94:95], v[28:29], v[94:95]
	v_fma_f64 v[74:75], v[184:185], s[28:29], -v[74:75]
	v_mul_f64 v[212:213], v[166:167], s[46:47]
	v_fma_f64 v[215:216], v[118:119], s[22:23], -v[100:101]
	v_fma_f64 v[78:79], v[182:183], s[2:3], -v[78:79]
	v_fma_f64 v[106:107], v[168:169], s[6:7], v[96:97]
	v_fma_f64 v[82:83], v[120:121], s[28:29], v[82:83]
	v_add_f64 v[84:85], v[90:91], v[84:85]
	v_add_f64 v[94:95], v[102:103], v[94:95]
	v_mul_f64 v[90:91], v[190:191], s[34:35]
	v_mul_f64 v[102:103], v[162:163], s[34:35]
	v_add_f64 v[74:75], v[30:31], v[74:75]
	v_fma_f64 v[217:218], v[116:117], s[6:7], -v[212:213]
	s_mov_b32 s45, 0x3feca52d
	s_mov_b32 s44, s40
	v_add_f64 v[84:85], v[98:99], v[84:85]
	v_add_f64 v[94:95], v[215:216], v[94:95]
	v_mul_f64 v[86:87], v[194:195], s[44:45]
	v_fma_f64 v[98:99], v[160:161], s[20:21], v[90:91]
	v_fma_f64 v[215:216], v[114:115], s[20:21], -v[102:103]
	v_add_f64 v[74:75], v[78:79], v[74:75]
	v_fma_f64 v[78:79], v[124:125], s[2:3], v[92:93]
	v_add_f64 v[82:83], v[28:29], v[82:83]
	v_add_f64 v[84:85], v[106:107], v[84:85]
	v_mul_f64 v[106:107], v[164:165], s[44:45]
	v_add_f64 v[92:93], v[217:218], v[94:95]
	v_mul_f64 v[72:73], v[198:199], s[24:25]
	v_fma_f64 v[104:105], v[170:171], s[4:5], v[86:87]
	v_fma_f64 v[88:89], v[178:179], s[22:23], -v[88:89]
	v_mul_f64 v[94:95], v[174:175], s[24:25]
	v_add_f64 v[78:79], v[78:79], v[82:83]
	v_add_f64 v[84:85], v[98:99], v[84:85]
	v_fma_f64 v[98:99], v[112:113], s[4:5], -v[106:107]
	v_add_f64 v[82:83], v[215:216], v[92:93]
	s_mov_b32 s53, 0x3fefdd0d
	s_mov_b32 s52, s18
	v_mul_f64 v[76:77], v[210:211], s[52:53]
	v_fma_f64 v[80:81], v[180:181], s[16:17], v[72:73]
	v_fma_f64 v[96:97], v[168:169], s[6:7], -v[96:97]
	v_add_f64 v[74:75], v[88:89], v[74:75]
	v_fma_f64 v[88:89], v[118:119], s[22:23], v[100:101]
	v_add_f64 v[84:85], v[104:105], v[84:85]
	v_mul_f64 v[92:93], v[188:189], s[52:53]
	v_fma_f64 v[100:101], v[122:123], s[16:17], -v[94:95]
	v_add_f64 v[82:83], v[98:99], v[82:83]
	v_fma_f64 v[90:91], v[160:161], s[20:21], -v[90:91]
	v_fma_f64 v[86:87], v[170:171], s[4:5], -v[86:87]
	v_add_f64 v[74:75], v[96:97], v[74:75]
	v_fma_f64 v[96:97], v[116:117], s[6:7], v[212:213]
	v_add_f64 v[78:79], v[88:89], v[78:79]
	v_fma_f64 v[88:89], v[192:193], s[10:11], v[76:77]
	v_add_f64 v[80:81], v[80:81], v[84:85]
	v_fma_f64 v[84:85], v[150:151], s[10:11], -v[92:93]
	v_add_f64 v[82:83], v[100:101], v[82:83]
	v_fma_f64 v[98:99], v[114:115], s[20:21], v[102:103]
	v_add_f64 v[90:91], v[90:91], v[74:75]
	s_mov_b32 s55, 0x3fe9895b
	v_add_f64 v[78:79], v[96:97], v[78:79]
	s_mov_b32 s54, s34
	v_add_f64 v[74:75], v[88:89], v[80:81]
	v_fma_f64 v[80:81], v[180:181], s[16:17], -v[72:73]
	v_mul_f64 v[88:89], v[206:207], s[36:37]
	v_add_f64 v[72:73], v[84:85], v[82:83]
	v_mul_f64 v[84:85], v[186:187], s[36:37]
	v_add_f64 v[86:87], v[86:87], v[90:91]
	v_fma_f64 v[90:91], v[112:113], s[4:5], v[106:107]
	v_add_f64 v[78:79], v[98:99], v[78:79]
	v_mul_f64 v[82:83], v[202:203], s[44:45]
	v_mul_f64 v[98:99], v[176:177], s[44:45]
	v_fma_f64 v[96:97], v[184:185], s[22:23], v[88:89]
	v_mul_f64 v[106:107], v[172:173], s[18:19]
	v_fma_f64 v[100:101], v[120:121], s[22:23], -v[84:85]
	v_add_f64 v[80:81], v[80:81], v[86:87]
	v_fma_f64 v[86:87], v[122:123], s[16:17], v[94:95]
	v_add_f64 v[78:79], v[90:91], v[78:79]
	v_mul_f64 v[90:91], v[200:201], s[18:19]
	v_fma_f64 v[94:95], v[182:183], s[4:5], v[82:83]
	v_add_f64 v[96:97], v[30:31], v[96:97]
	v_fma_f64 v[215:216], v[124:125], s[4:5], -v[98:99]
	v_add_f64 v[100:101], v[28:29], v[100:101]
	v_mul_f64 v[102:103], v[196:197], s[54:55]
	v_mul_f64 v[217:218], v[166:167], s[54:55]
	v_fma_f64 v[219:220], v[118:119], s[10:11], -v[106:107]
	v_fma_f64 v[104:105], v[178:179], s[10:11], v[90:91]
	v_fma_f64 v[88:89], v[184:185], s[22:23], -v[88:89]
	v_add_f64 v[94:95], v[94:95], v[96:97]
	v_add_f64 v[78:79], v[86:87], v[78:79]
	;; [unrolled: 1-line block ×3, first 2 shown]
	v_mul_f64 v[86:87], v[190:191], s[30:31]
	v_fma_f64 v[96:97], v[168:169], s[20:21], v[102:103]
	v_mul_f64 v[223:224], v[162:163], s[30:31]
	v_fma_f64 v[225:226], v[116:117], s[20:21], -v[217:218]
	v_fma_f64 v[82:83], v[182:183], s[4:5], -v[82:83]
	v_add_f64 v[94:95], v[104:105], v[94:95]
	v_add_f64 v[88:89], v[30:31], v[88:89]
	;; [unrolled: 1-line block ×3, first 2 shown]
	v_fma_f64 v[84:85], v[120:121], s[22:23], v[84:85]
	v_mul_f64 v[215:216], v[194:195], s[38:39]
	v_fma_f64 v[221:222], v[160:161], s[2:3], v[86:87]
	v_mul_f64 v[227:228], v[164:165], s[38:39]
	v_fma_f64 v[229:230], v[114:115], s[2:3], -v[223:224]
	v_add_f64 v[94:95], v[96:97], v[94:95]
	v_fma_f64 v[90:91], v[178:179], s[10:11], -v[90:91]
	v_add_f64 v[100:101], v[225:226], v[100:101]
	v_add_f64 v[82:83], v[82:83], v[88:89]
	v_fma_f64 v[98:99], v[124:125], s[4:5], v[98:99]
	v_add_f64 v[84:85], v[28:29], v[84:85]
	v_fma_f64 v[76:77], v[192:193], s[10:11], -v[76:77]
	v_fma_f64 v[92:93], v[150:151], s[10:11], v[92:93]
	v_mul_f64 v[96:97], v[198:199], s[46:47]
	v_fma_f64 v[219:220], v[170:171], s[28:29], v[215:216]
	v_add_f64 v[94:95], v[221:222], v[94:95]
	v_mul_f64 v[225:226], v[174:175], s[46:47]
	v_fma_f64 v[88:89], v[112:113], s[28:29], -v[227:228]
	v_add_f64 v[100:101], v[229:230], v[100:101]
	v_fma_f64 v[102:103], v[168:169], s[20:21], -v[102:103]
	v_add_f64 v[82:83], v[90:91], v[82:83]
	v_fma_f64 v[106:107], v[118:119], s[10:11], v[106:107]
	v_add_f64 v[84:85], v[98:99], v[84:85]
	v_mul_f64 v[104:105], v[210:211], s[24:25]
	v_fma_f64 v[221:222], v[180:181], s[6:7], v[96:97]
	v_add_f64 v[94:95], v[219:220], v[94:95]
	v_mul_f64 v[219:220], v[188:189], s[24:25]
	v_fma_f64 v[90:91], v[122:123], s[6:7], -v[225:226]
	v_add_f64 v[88:89], v[88:89], v[100:101]
	v_fma_f64 v[86:87], v[160:161], s[2:3], -v[86:87]
	v_add_f64 v[98:99], v[102:103], v[82:83]
	v_add_f64 v[82:83], v[76:77], v[80:81]
	;; [unrolled: 1-line block ×3, first 2 shown]
	v_fma_f64 v[92:93], v[116:117], s[20:21], v[217:218]
	v_add_f64 v[84:85], v[106:107], v[84:85]
	v_fma_f64 v[100:101], v[192:193], s[16:17], v[104:105]
	v_add_f64 v[94:95], v[221:222], v[94:95]
	v_fma_f64 v[102:103], v[150:151], s[16:17], -v[219:220]
	v_add_f64 v[88:89], v[90:91], v[88:89]
	v_add_f64 v[86:87], v[86:87], v[98:99]
	v_mul_f64 v[98:99], v[206:207], s[34:35]
	s_mov_b32 s49, 0x3feec746
	v_add_f64 v[84:85], v[92:93], v[84:85]
	v_mul_f64 v[92:93], v[186:187], s[34:35]
	s_mov_b32 s48, s24
	v_fma_f64 v[90:91], v[170:171], s[28:29], -v[215:216]
	v_add_f64 v[78:79], v[100:101], v[94:95]
	v_add_f64 v[76:77], v[102:103], v[88:89]
	v_fma_f64 v[88:89], v[192:193], s[16:17], -v[104:105]
	v_fma_f64 v[94:95], v[180:181], s[6:7], -v[96:97]
	v_fma_f64 v[96:97], v[114:115], s[2:3], v[223:224]
	v_mul_f64 v[100:101], v[202:203], s[48:49]
	v_fma_f64 v[102:103], v[184:185], s[20:21], v[98:99]
	v_mul_f64 v[104:105], v[176:177], s[48:49]
	v_fma_f64 v[106:107], v[120:121], s[20:21], -v[92:93]
	v_add_f64 v[86:87], v[90:91], v[86:87]
	v_fma_f64 v[90:91], v[112:113], s[28:29], v[227:228]
	v_fma_f64 v[217:218], v[150:151], s[16:17], v[219:220]
	v_add_f64 v[84:85], v[96:97], v[84:85]
	v_mul_f64 v[96:97], v[200:201], s[30:31]
	v_fma_f64 v[215:216], v[182:183], s[16:17], v[100:101]
	v_add_f64 v[102:103], v[30:31], v[102:103]
	v_mul_f64 v[219:220], v[172:173], s[30:31]
	v_fma_f64 v[221:222], v[124:125], s[16:17], -v[104:105]
	v_add_f64 v[106:107], v[28:29], v[106:107]
	v_add_f64 v[86:87], v[94:95], v[86:87]
	v_fma_f64 v[94:95], v[122:123], s[6:7], v[225:226]
	v_add_f64 v[84:85], v[90:91], v[84:85]
	v_mul_f64 v[90:91], v[196:197], s[36:37]
	v_fma_f64 v[223:224], v[178:179], s[2:3], v[96:97]
	v_add_f64 v[102:103], v[215:216], v[102:103]
	v_fma_f64 v[98:99], v[184:185], s[20:21], -v[98:99]
	v_mul_f64 v[215:216], v[166:167], s[36:37]
	v_fma_f64 v[225:226], v[118:119], s[2:3], -v[219:220]
	v_add_f64 v[106:107], v[221:222], v[106:107]
	v_add_f64 v[84:85], v[94:95], v[84:85]
	v_mul_f64 v[94:95], v[190:191], s[52:53]
	v_fma_f64 v[221:222], v[168:169], s[22:23], v[90:91]
	v_add_f64 v[102:103], v[223:224], v[102:103]
	v_fma_f64 v[100:101], v[182:183], s[16:17], -v[100:101]
	v_add_f64 v[98:99], v[30:31], v[98:99]
	v_mul_f64 v[227:228], v[162:163], s[52:53]
	v_fma_f64 v[229:230], v[116:117], s[22:23], -v[215:216]
	v_add_f64 v[106:107], v[225:226], v[106:107]
	v_mul_f64 v[223:224], v[194:195], s[14:15]
	v_fma_f64 v[225:226], v[160:161], s[10:11], v[94:95]
	v_add_f64 v[102:103], v[221:222], v[102:103]
	v_fma_f64 v[96:97], v[178:179], s[2:3], -v[96:97]
	v_add_f64 v[98:99], v[100:101], v[98:99]
	v_mul_f64 v[100:101], v[164:165], s[14:15]
	v_fma_f64 v[231:232], v[114:115], s[10:11], -v[227:228]
	;; [unrolled: 8-line block ×3, first 2 shown]
	v_add_f64 v[106:107], v[231:232], v[106:107]
	v_fma_f64 v[231:232], v[180:181], s[28:29], v[221:222]
	v_fma_f64 v[94:95], v[160:161], s[10:11], -v[94:95]
	v_add_f64 v[102:103], v[229:230], v[102:103]
	v_fma_f64 v[92:93], v[120:121], s[20:21], v[92:93]
	v_add_f64 v[90:91], v[90:91], v[96:97]
	v_mul_f64 v[96:97], v[188:189], s[44:45]
	v_fma_f64 v[229:230], v[122:123], s[28:29], -v[98:99]
	v_add_f64 v[106:107], v[233:234], v[106:107]
	v_fma_f64 v[223:224], v[170:171], s[6:7], -v[223:224]
	v_fma_f64 v[104:105], v[124:125], s[16:17], v[104:105]
	v_add_f64 v[102:103], v[231:232], v[102:103]
	v_add_f64 v[92:93], v[28:29], v[92:93]
	;; [unrolled: 1-line block ×3, first 2 shown]
	v_fma_f64 v[231:232], v[150:151], s[4:5], -v[96:97]
	v_mul_f64 v[225:226], v[210:211], s[44:45]
	v_add_f64 v[106:107], v[229:230], v[106:107]
	v_add_f64 v[90:91], v[88:89], v[86:87]
	v_fma_f64 v[221:222], v[180:181], s[28:29], -v[221:222]
	v_fma_f64 v[219:220], v[118:119], s[2:3], v[219:220]
	v_add_f64 v[92:93], v[104:105], v[92:93]
	v_add_f64 v[94:95], v[223:224], v[94:95]
	;; [unrolled: 1-line block ×3, first 2 shown]
	s_mov_b32 s51, 0x3fe0d888
	v_add_f64 v[84:85], v[231:232], v[106:107]
	v_mul_f64 v[106:107], v[206:207], s[24:25]
	s_mov_b32 s50, s36
	v_fma_f64 v[233:234], v[192:193], s[4:5], v[225:226]
	v_fma_f64 v[104:105], v[116:117], s[22:23], v[215:216]
	v_add_f64 v[92:93], v[219:220], v[92:93]
	v_add_f64 v[94:95], v[221:222], v[94:95]
	v_mul_f64 v[217:218], v[186:187], s[24:25]
	v_mul_f64 v[219:220], v[202:203], s[50:51]
	v_fma_f64 v[221:222], v[184:185], s[16:17], v[106:107]
	v_fma_f64 v[215:216], v[114:115], s[10:11], v[227:228]
	v_add_f64 v[86:87], v[233:234], v[102:103]
	v_fma_f64 v[102:103], v[192:193], s[4:5], -v[225:226]
	v_add_f64 v[92:93], v[104:105], v[92:93]
	v_mul_f64 v[104:105], v[200:201], s[46:47]
	v_mul_f64 v[223:224], v[176:177], s[50:51]
	v_fma_f64 v[225:226], v[120:121], s[16:17], -v[217:218]
	v_fma_f64 v[227:228], v[182:183], s[22:23], v[219:220]
	v_add_f64 v[221:222], v[30:31], v[221:222]
	v_fma_f64 v[100:101], v[112:113], s[6:7], v[100:101]
	v_mul_f64 v[229:230], v[172:173], s[46:47]
	v_add_f64 v[92:93], v[215:216], v[92:93]
	v_mul_f64 v[215:216], v[196:197], s[40:41]
	v_fma_f64 v[231:232], v[124:125], s[22:23], -v[223:224]
	v_add_f64 v[225:226], v[28:29], v[225:226]
	v_fma_f64 v[233:234], v[178:179], s[6:7], v[104:105]
	v_add_f64 v[221:222], v[227:228], v[221:222]
	v_mul_f64 v[227:228], v[166:167], s[40:41]
	v_fma_f64 v[235:236], v[118:119], s[6:7], -v[229:230]
	v_add_f64 v[92:93], v[100:101], v[92:93]
	v_mul_f64 v[100:101], v[190:191], s[38:39]
	v_fma_f64 v[106:107], v[184:185], s[16:17], -v[106:107]
	v_add_f64 v[225:226], v[231:232], v[225:226]
	v_fma_f64 v[231:232], v[168:169], s[4:5], v[215:216]
	v_add_f64 v[221:222], v[233:234], v[221:222]
	v_mul_f64 v[233:234], v[194:195], s[52:53]
	v_mul_f64 v[237:238], v[162:163], s[38:39]
	v_fma_f64 v[239:240], v[116:117], s[4:5], -v[227:228]
	v_fma_f64 v[219:220], v[182:183], s[22:23], -v[219:220]
	v_add_f64 v[106:107], v[30:31], v[106:107]
	v_add_f64 v[225:226], v[235:236], v[225:226]
	v_fma_f64 v[235:236], v[160:161], s[28:29], v[100:101]
	v_add_f64 v[221:222], v[231:232], v[221:222]
	v_mul_f64 v[231:232], v[198:199], s[30:31]
	v_mul_f64 v[241:242], v[164:165], s[52:53]
	v_fma_f64 v[243:244], v[114:115], s[28:29], -v[237:238]
	v_fma_f64 v[104:105], v[178:179], s[6:7], -v[104:105]
	v_add_f64 v[106:107], v[219:220], v[106:107]
	;; [unrolled: 8-line block ×3, first 2 shown]
	v_add_f64 v[106:107], v[243:244], v[219:220]
	v_fma_f64 v[219:220], v[180:181], s[2:3], v[231:232]
	v_add_f64 v[221:222], v[225:226], v[221:222]
	v_fma_f64 v[98:99], v[122:123], s[28:29], v[98:99]
	v_mul_f64 v[225:226], v[188:189], s[34:35]
	v_fma_f64 v[243:244], v[122:123], s[2:3], -v[239:240]
	v_fma_f64 v[100:101], v[160:161], s[28:29], -v[100:101]
	v_add_f64 v[104:105], v[215:216], v[104:105]
	v_add_f64 v[106:107], v[245:246], v[106:107]
	v_fma_f64 v[215:216], v[192:193], s[20:21], v[235:236]
	v_add_f64 v[219:220], v[219:220], v[221:222]
	v_fma_f64 v[96:97], v[150:151], s[4:5], v[96:97]
	v_add_f64 v[92:93], v[98:99], v[92:93]
	v_add_f64 v[98:99], v[102:103], v[94:95]
	v_fma_f64 v[102:103], v[150:151], s[20:21], -v[225:226]
	v_fma_f64 v[221:222], v[170:171], s[10:11], -v[233:234]
	v_fma_f64 v[217:218], v[120:121], s[16:17], v[217:218]
	v_add_f64 v[100:101], v[100:101], v[104:105]
	v_add_f64 v[104:105], v[243:244], v[106:107]
	;; [unrolled: 1-line block ×3, first 2 shown]
	v_mul_f64 v[219:220], v[206:207], s[18:19]
	v_add_f64 v[96:97], v[96:97], v[92:93]
	v_fma_f64 v[106:107], v[180:181], s[2:3], -v[231:232]
	v_fma_f64 v[215:216], v[124:125], s[22:23], v[223:224]
	v_add_f64 v[217:218], v[28:29], v[217:218]
	v_add_f64 v[100:101], v[221:222], v[100:101]
	;; [unrolled: 1-line block ×3, first 2 shown]
	v_mul_f64 v[104:105], v[186:187], s[18:19]
	v_fma_f64 v[221:222], v[118:119], s[6:7], v[229:230]
	v_mul_f64 v[223:224], v[202:203], s[38:39]
	v_fma_f64 v[229:230], v[184:185], s[10:11], v[219:220]
	v_mul_f64 v[231:232], v[200:201], s[48:49]
	v_add_f64 v[215:216], v[215:216], v[217:218]
	v_add_f64 v[100:101], v[106:107], v[100:101]
	v_mul_f64 v[106:107], v[176:177], s[38:39]
	v_fma_f64 v[217:218], v[120:121], s[10:11], -v[104:105]
	v_fma_f64 v[102:103], v[192:193], s[20:21], -v[235:236]
	v_fma_f64 v[233:234], v[182:183], s[28:29], v[223:224]
	v_add_f64 v[229:230], v[30:31], v[229:230]
	v_fma_f64 v[227:228], v[116:117], s[4:5], v[227:228]
	v_add_f64 v[215:216], v[221:222], v[215:216]
	v_mul_f64 v[221:222], v[172:173], s[48:49]
	v_fma_f64 v[235:236], v[124:125], s[28:29], -v[106:107]
	v_add_f64 v[217:218], v[28:29], v[217:218]
	v_mul_f64 v[243:244], v[196:197], s[42:43]
	v_fma_f64 v[245:246], v[178:179], s[16:17], v[231:232]
	v_add_f64 v[229:230], v[233:234], v[229:230]
	v_fma_f64 v[237:238], v[114:115], s[28:29], v[237:238]
	v_add_f64 v[215:216], v[227:228], v[215:216]
	v_mul_f64 v[227:228], v[166:167], s[42:43]
	v_fma_f64 v[233:234], v[118:119], s[16:17], -v[221:222]
	v_add_f64 v[217:218], v[235:236], v[217:218]
	v_fma_f64 v[235:236], v[112:113], s[10:11], v[241:242]
	v_mul_f64 v[241:242], v[190:191], s[40:41]
	v_fma_f64 v[247:248], v[168:169], s[2:3], v[243:244]
	v_add_f64 v[229:230], v[245:246], v[229:230]
	v_add_f64 v[215:216], v[237:238], v[215:216]
	v_mul_f64 v[237:238], v[162:163], s[40:41]
	v_fma_f64 v[245:246], v[116:117], s[2:3], -v[227:228]
	v_add_f64 v[217:218], v[233:234], v[217:218]
	v_fma_f64 v[233:234], v[122:123], s[2:3], v[239:240]
	v_mul_f64 v[239:240], v[194:195], s[36:37]
	v_fma_f64 v[249:250], v[160:161], s[4:5], v[241:242]
	v_add_f64 v[229:230], v[247:248], v[229:230]
	v_fma_f64 v[219:220], v[184:185], s[10:11], -v[219:220]
	v_add_f64 v[215:216], v[235:236], v[215:216]
	v_mul_f64 v[235:236], v[164:165], s[36:37]
	v_fma_f64 v[247:248], v[114:115], s[4:5], -v[237:238]
	v_add_f64 v[217:218], v[245:246], v[217:218]
	v_add_f64 v[102:103], v[102:103], v[100:101]
	v_fma_f64 v[100:101], v[170:171], s[22:23], v[239:240]
	v_add_f64 v[229:230], v[249:250], v[229:230]
	v_fma_f64 v[104:105], v[120:121], s[10:11], v[104:105]
	v_fma_f64 v[223:224], v[182:183], s[28:29], -v[223:224]
	v_add_f64 v[219:220], v[30:31], v[219:220]
	v_mul_f64 v[245:246], v[198:199], s[54:55]
	v_add_f64 v[215:216], v[233:234], v[215:216]
	v_fma_f64 v[233:234], v[112:113], s[22:23], -v[235:236]
	v_add_f64 v[217:218], v[247:248], v[217:218]
	v_add_f64 v[100:101], v[100:101], v[229:230]
	v_mul_f64 v[229:230], v[174:175], s[54:55]
	v_fma_f64 v[106:107], v[124:125], s[28:29], v[106:107]
	v_add_f64 v[104:105], v[28:29], v[104:105]
	v_fma_f64 v[231:232], v[178:179], s[16:17], -v[231:232]
	v_add_f64 v[219:220], v[223:224], v[219:220]
	v_fma_f64 v[249:250], v[180:181], s[20:21], v[245:246]
	v_add_f64 v[217:218], v[233:234], v[217:218]
	v_fma_f64 v[225:226], v[150:151], s[20:21], v[225:226]
	v_fma_f64 v[223:224], v[122:123], s[20:21], -v[229:230]
	v_fma_f64 v[243:244], v[168:169], s[2:3], -v[243:244]
	v_add_f64 v[104:105], v[106:107], v[104:105]
	v_fma_f64 v[221:222], v[118:119], s[16:17], v[221:222]
	v_add_f64 v[219:220], v[231:232], v[219:220]
	v_mul_f64 v[233:234], v[188:189], s[46:47]
	v_add_f64 v[249:250], v[249:250], v[100:101]
	v_add_f64 v[100:101], v[225:226], v[215:216]
	;; [unrolled: 1-line block ×3, first 2 shown]
	v_fma_f64 v[215:216], v[160:161], s[4:5], -v[241:242]
	v_fma_f64 v[223:224], v[116:117], s[2:3], v[227:228]
	v_mul_f64 v[225:226], v[206:207], s[40:41]
	v_add_f64 v[221:222], v[221:222], v[104:105]
	v_add_f64 v[219:220], v[243:244], v[219:220]
	v_fma_f64 v[253:254], v[150:151], s[6:7], -v[233:234]
	v_fma_f64 v[227:228], v[170:171], s[22:23], -v[239:240]
	v_fma_f64 v[231:232], v[114:115], s[4:5], v[237:238]
	v_mul_f64 v[237:238], v[202:203], s[34:35]
	s_mov_b32 s53, 0x3fc7851a
	v_fma_f64 v[239:240], v[184:185], s[4:5], v[225:226]
	v_add_f64 v[221:222], v[223:224], v[221:222]
	v_add_f64 v[215:216], v[215:216], v[219:220]
	s_mov_b32 s52, s38
	v_add_f64 v[104:105], v[253:254], v[217:218]
	v_fma_f64 v[217:218], v[180:181], s[20:21], -v[245:246]
	v_fma_f64 v[219:220], v[112:113], s[22:23], v[235:236]
	v_mul_f64 v[223:224], v[200:201], s[52:53]
	v_fma_f64 v[235:236], v[182:183], s[20:21], v[237:238]
	v_add_f64 v[239:240], v[30:31], v[239:240]
	v_add_f64 v[221:222], v[231:232], v[221:222]
	;; [unrolled: 1-line block ×3, first 2 shown]
	v_mul_f64 v[231:232], v[186:187], s[40:41]
	v_fma_f64 v[225:226], v[184:185], s[4:5], -v[225:226]
	v_mul_f64 v[247:248], v[210:211], s[46:47]
	v_fma_f64 v[229:230], v[122:123], s[20:21], v[229:230]
	v_mul_f64 v[241:242], v[196:197], s[48:49]
	v_fma_f64 v[243:244], v[178:179], s[28:29], v[223:224]
	v_add_f64 v[235:236], v[235:236], v[239:240]
	v_add_f64 v[219:220], v[219:220], v[221:222]
	;; [unrolled: 1-line block ×3, first 2 shown]
	v_mul_f64 v[221:222], v[176:177], s[34:35]
	v_fma_f64 v[217:218], v[120:121], s[4:5], -v[231:232]
	v_fma_f64 v[237:238], v[182:183], s[20:21], -v[237:238]
	v_add_f64 v[225:226], v[30:31], v[225:226]
	v_fma_f64 v[251:252], v[192:193], s[6:7], v[247:248]
	v_fma_f64 v[227:228], v[192:193], s[6:7], -v[247:248]
	v_fma_f64 v[233:234], v[150:151], s[6:7], v[233:234]
	v_mul_f64 v[239:240], v[190:191], s[46:47]
	v_fma_f64 v[245:246], v[168:169], s[16:17], v[241:242]
	v_add_f64 v[235:236], v[243:244], v[235:236]
	v_add_f64 v[219:220], v[229:230], v[219:220]
	v_mul_f64 v[229:230], v[172:173], s[52:53]
	v_fma_f64 v[243:244], v[124:125], s[20:21], -v[221:222]
	v_add_f64 v[247:248], v[28:29], v[217:218]
	v_add_f64 v[225:226], v[237:238], v[225:226]
	v_fma_f64 v[223:224], v[178:179], s[28:29], -v[223:224]
	v_add_f64 v[106:107], v[251:252], v[249:250]
	v_add_f64 v[217:218], v[227:228], v[215:216]
	v_fma_f64 v[249:250], v[160:161], s[6:7], v[239:240]
	v_add_f64 v[235:236], v[245:246], v[235:236]
	v_add_f64 v[215:216], v[233:234], v[219:220]
	v_mul_f64 v[219:220], v[166:167], s[48:49]
	v_fma_f64 v[233:234], v[118:119], s[28:29], -v[229:230]
	v_add_f64 v[243:244], v[243:244], v[247:248]
	v_fma_f64 v[241:242], v[168:169], s[16:17], -v[241:242]
	v_add_f64 v[223:224], v[223:224], v[225:226]
	v_mul_f64 v[208:209], v[206:207], s[30:31]
	v_mul_f64 v[227:228], v[194:195], s[30:31]
	v_add_f64 v[235:236], v[249:250], v[235:236]
	v_fma_f64 v[231:232], v[120:121], s[4:5], v[231:232]
	v_mul_f64 v[249:250], v[162:163], s[46:47]
	v_fma_f64 v[251:252], v[116:117], s[16:17], -v[219:220]
	v_add_f64 v[233:234], v[233:234], v[243:244]
	v_fma_f64 v[239:240], v[160:161], s[6:7], -v[239:240]
	v_add_f64 v[223:224], v[241:242], v[223:224]
	v_add_f64 v[70:71], v[30:31], v[70:71]
	;; [unrolled: 1-line block ×3, first 2 shown]
	v_mul_f64 v[206:207], v[206:207], s[14:15]
	v_mul_f64 v[245:246], v[198:199], s[18:19]
	v_fma_f64 v[247:248], v[170:171], s[2:3], v[227:228]
	v_fma_f64 v[221:222], v[124:125], s[20:21], v[221:222]
	v_add_f64 v[231:232], v[28:29], v[231:232]
	v_add_f64 v[233:234], v[251:252], v[233:234]
	v_fma_f64 v[251:252], v[114:115], s[6:7], -v[249:250]
	v_add_f64 v[223:224], v[239:240], v[223:224]
	v_add_f64 v[66:67], v[70:71], v[66:67]
	;; [unrolled: 1-line block ×3, first 2 shown]
	v_mul_f64 v[68:69], v[202:203], s[18:19]
	v_fma_f64 v[70:71], v[184:185], s[6:7], v[206:207]
	v_fma_f64 v[227:228], v[170:171], s[2:3], -v[227:228]
	v_fma_f64 v[243:244], v[180:181], s[10:11], v[245:246]
	v_add_f64 v[235:236], v[247:248], v[235:236]
	v_add_f64 v[221:222], v[221:222], v[231:232]
	v_fma_f64 v[229:230], v[118:119], s[28:29], v[229:230]
	v_add_f64 v[233:234], v[251:252], v[233:234]
	v_mul_f64 v[251:252], v[200:201], s[40:41]
	v_add_f64 v[62:63], v[66:67], v[62:63]
	v_add_f64 v[66:67], v[64:65], v[60:61]
	v_fma_f64 v[60:61], v[182:183], s[10:11], v[68:69]
	v_add_f64 v[64:65], v[30:31], v[70:71]
	v_mul_f64 v[70:71], v[200:201], s[34:35]
	v_mul_f64 v[200:201], v[210:211], s[36:37]
	v_add_f64 v[223:224], v[227:228], v[223:224]
	v_fma_f64 v[245:246], v[180:181], s[10:11], -v[245:246]
	v_add_f64 v[235:236], v[243:244], v[235:236]
	v_add_f64 v[221:222], v[229:230], v[221:222]
	v_mul_f64 v[229:230], v[196:197], s[18:19]
	v_add_f64 v[60:61], v[60:61], v[64:65]
	v_fma_f64 v[64:65], v[178:179], s[20:21], v[70:71]
	v_mul_f64 v[196:197], v[196:197], s[38:39]
	v_mul_f64 v[186:187], v[186:187], s[14:15]
	v_add_f64 v[223:224], v[245:246], v[223:224]
	v_fma_f64 v[245:246], v[192:193], s[22:23], v[200:201]
	v_fma_f64 v[184:185], v[184:185], s[6:7], -v[206:207]
	v_fma_f64 v[219:220], v[116:117], s[16:17], v[219:220]
	v_fma_f64 v[200:201], v[192:193], s[22:23], -v[200:201]
	v_add_f64 v[64:65], v[64:65], v[60:61]
	v_fma_f64 v[253:254], v[168:169], s[28:29], v[196:197]
	v_mul_f64 v[176:177], v[176:177], s[18:19]
	v_fma_f64 v[68:69], v[182:183], s[10:11], -v[68:69]
	v_add_f64 v[60:61], v[245:246], v[235:236]
	v_fma_f64 v[245:246], v[120:121], s[6:7], -v[186:187]
	v_add_f64 v[184:185], v[30:31], v[184:185]
	v_add_f64 v[58:59], v[62:63], v[58:59]
	;; [unrolled: 1-line block ×3, first 2 shown]
	v_mul_f64 v[247:248], v[164:165], s[30:31]
	v_mul_f64 v[241:242], v[190:191], s[24:25]
	v_add_f64 v[219:220], v[219:220], v[221:222]
	v_fma_f64 v[249:250], v[114:115], s[6:7], v[249:250]
	v_mul_f64 v[206:207], v[210:211], s[38:39]
	v_add_f64 v[235:236], v[253:254], v[64:65]
	v_add_f64 v[64:65], v[200:201], v[223:224]
	v_mul_f64 v[200:201], v[210:211], s[42:43]
	v_fma_f64 v[70:71], v[178:179], s[20:21], -v[70:71]
	v_fma_f64 v[178:179], v[124:125], s[10:11], -v[176:177]
	v_add_f64 v[210:211], v[28:29], v[245:246]
	v_mul_f64 v[190:191], v[190:191], s[50:51]
	v_mul_f64 v[172:173], v[172:173], s[34:35]
	v_add_f64 v[68:69], v[68:69], v[184:185]
	v_add_f64 v[54:55], v[58:59], v[54:55]
	v_add_f64 v[52:53], v[56:57], v[52:53]
	v_fma_f64 v[243:244], v[112:113], s[2:3], -v[247:248]
	v_mul_f64 v[239:240], v[194:195], s[34:35]
	v_add_f64 v[219:220], v[249:250], v[219:220]
	v_fma_f64 v[247:248], v[112:113], s[2:3], v[247:248]
	v_mul_f64 v[194:195], v[194:195], s[48:49]
	v_add_f64 v[178:179], v[178:179], v[210:211]
	v_fma_f64 v[210:211], v[160:161], s[22:23], v[190:191]
	v_fma_f64 v[168:169], v[168:169], s[28:29], -v[196:197]
	v_fma_f64 v[196:197], v[118:119], s[20:21], -v[172:173]
	v_add_f64 v[68:69], v[70:71], v[68:69]
	v_add_f64 v[50:51], v[54:55], v[50:51]
	;; [unrolled: 1-line block ×4, first 2 shown]
	v_mul_f64 v[247:248], v[198:199], s[36:37]
	v_mul_f64 v[198:199], v[198:199], s[44:45]
	v_fma_f64 v[62:63], v[170:171], s[16:17], v[194:195]
	v_add_f64 v[178:179], v[196:197], v[178:179]
	v_add_f64 v[196:197], v[210:211], v[235:236]
	v_fma_f64 v[160:161], v[160:161], s[22:23], -v[190:191]
	v_add_f64 v[68:69], v[168:169], v[68:69]
	v_add_f64 v[46:47], v[50:51], v[46:47]
	;; [unrolled: 1-line block ×3, first 2 shown]
	v_mul_f64 v[204:205], v[120:121], s[2:3]
	v_fma_f64 v[70:71], v[180:181], s[4:5], v[198:199]
	v_mul_f64 v[56:57], v[164:165], s[48:49]
	v_add_f64 v[62:63], v[62:63], v[196:197]
	v_fma_f64 v[164:165], v[170:171], s[16:17], -v[194:195]
	v_add_f64 v[68:69], v[160:161], v[68:69]
	v_add_f64 v[42:43], v[46:47], v[42:43]
	;; [unrolled: 1-line block ×3, first 2 shown]
	v_mul_f64 v[212:213], v[124:125], s[6:7]
	v_mul_f64 v[237:238], v[202:203], s[14:15]
	v_add_f64 v[148:149], v[148:149], -v[208:209]
	v_add_f64 v[70:71], v[70:71], v[62:63]
	v_fma_f64 v[62:63], v[180:181], s[4:5], -v[198:199]
	v_add_f64 v[68:69], v[164:165], v[68:69]
	v_add_f64 v[44:45], v[204:205], v[134:135]
	v_fma_f64 v[46:47], v[120:121], s[6:7], v[186:187]
	v_add_f64 v[38:39], v[42:43], v[38:39]
	v_add_f64 v[36:37], v[40:41], v[36:37]
	v_mul_f64 v[231:232], v[118:119], s[4:5]
	v_add_f64 v[120:121], v[146:147], -v[237:238]
	v_add_f64 v[30:31], v[30:31], v[148:149]
	v_add_f64 v[62:63], v[62:63], v[68:69]
	v_fma_f64 v[68:69], v[124:125], s[10:11], v[176:177]
	v_add_f64 v[124:125], v[212:213], v[136:137]
	v_add_f64 v[40:41], v[28:29], v[44:45]
	;; [unrolled: 1-line block ×5, first 2 shown]
	v_mul_f64 v[225:226], v[116:117], s[10:11]
	v_add_f64 v[44:45], v[138:139], -v[251:252]
	v_add_f64 v[30:31], v[120:121], v[30:31]
	v_add_f64 v[46:47], v[231:232], v[126:127]
	;; [unrolled: 1-line block ×3, first 2 shown]
	v_mul_f64 v[166:167], v[166:167], s[38:39]
	v_fma_f64 v[42:43], v[118:119], s[20:21], v[172:173]
	v_add_f64 v[28:29], v[68:69], v[28:29]
	v_add_f64 v[26:27], v[34:35], v[26:27]
	;; [unrolled: 1-line block ×4, first 2 shown]
	v_mul_f64 v[243:244], v[114:115], s[16:17]
	v_add_f64 v[40:41], v[140:141], -v[229:230]
	v_add_f64 v[30:31], v[44:45], v[30:31]
	v_add_f64 v[44:45], v[225:226], v[128:129]
	;; [unrolled: 1-line block ×3, first 2 shown]
	v_mul_f64 v[66:67], v[162:163], s[50:51]
	v_fma_f64 v[38:39], v[116:117], s[28:29], v[166:167]
	v_add_f64 v[28:29], v[42:43], v[28:29]
	v_fma_f64 v[162:163], v[116:117], s[28:29], -v[166:167]
	v_add_f64 v[22:23], v[26:27], v[22:23]
	v_add_f64 v[20:21], v[24:25], v[20:21]
	v_mul_f64 v[221:222], v[112:113], s[20:21]
	v_mul_f64 v[249:250], v[174:175], s[18:19]
	v_add_f64 v[36:37], v[142:143], -v[241:242]
	v_add_f64 v[30:31], v[40:41], v[30:31]
	v_add_f64 v[40:41], v[243:244], v[130:131]
	;; [unrolled: 1-line block ×3, first 2 shown]
	v_fma_f64 v[34:35], v[114:115], s[22:23], v[66:67]
	v_add_f64 v[26:27], v[38:39], v[28:29]
	v_fma_f64 v[58:59], v[114:115], s[22:23], -v[66:67]
	v_add_f64 v[162:163], v[162:163], v[178:179]
	v_add_f64 v[18:19], v[22:23], v[18:19]
	;; [unrolled: 1-line block ×3, first 2 shown]
	v_mul_f64 v[202:203], v[122:123], s[22:23]
	v_fma_f64 v[227:228], v[122:123], s[10:11], -v[249:250]
	v_add_f64 v[32:33], v[144:145], -v[239:240]
	v_add_f64 v[30:31], v[36:37], v[30:31]
	v_add_f64 v[36:37], v[221:222], v[132:133]
	;; [unrolled: 1-line block ×3, first 2 shown]
	v_mul_f64 v[52:53], v[174:175], s[44:45]
	v_fma_f64 v[28:29], v[112:113], s[16:17], v[56:57]
	v_add_f64 v[22:23], v[34:35], v[26:27]
	v_fma_f64 v[249:250], v[122:123], s[10:11], v[249:250]
	v_fma_f64 v[54:55], v[112:113], s[16:17], -v[56:57]
	v_add_f64 v[58:59], v[58:59], v[162:163]
	v_add_f64 v[14:15], v[18:19], v[14:15]
	;; [unrolled: 1-line block ×4, first 2 shown]
	v_mul_f64 v[233:234], v[150:151], s[28:29]
	v_add_f64 v[26:27], v[156:157], -v[247:248]
	v_add_f64 v[30:31], v[32:33], v[30:31]
	v_add_f64 v[32:33], v[202:203], v[152:153]
	;; [unrolled: 1-line block ×3, first 2 shown]
	v_mul_f64 v[48:49], v[188:189], s[42:43]
	v_fma_f64 v[24:25], v[122:123], s[4:5], v[52:53]
	v_add_f64 v[18:19], v[28:29], v[22:23]
	v_add_f64 v[219:220], v[249:250], v[219:220]
	v_mul_f64 v[249:250], v[188:189], s[36:37]
	v_fma_f64 v[50:51], v[122:123], s[4:5], -v[52:53]
	v_add_f64 v[54:55], v[54:55], v[58:59]
	v_add_f64 v[10:11], v[14:15], v[10:11]
	;; [unrolled: 1-line block ×3, first 2 shown]
	v_add_f64 v[22:23], v[158:159], -v[206:207]
	v_add_f64 v[26:27], v[26:27], v[30:31]
	v_add_f64 v[28:29], v[233:234], v[154:155]
	v_add_f64 v[30:31], v[32:33], v[16:17]
	v_fma_f64 v[58:59], v[192:193], s[2:3], -v[200:201]
	v_fma_f64 v[20:21], v[150:151], s[2:3], v[48:49]
	v_add_f64 v[18:19], v[24:25], v[18:19]
	v_fma_f64 v[223:224], v[150:151], s[22:23], v[249:250]
	v_fma_f64 v[182:183], v[150:151], s[22:23], -v[249:250]
	v_fma_f64 v[184:185], v[192:193], s[2:3], v[200:201]
	v_fma_f64 v[24:25], v[150:151], s[2:3], -v[48:49]
	v_add_f64 v[32:33], v[50:51], v[54:55]
	v_add_f64 v[16:17], v[10:11], v[6:7]
	;; [unrolled: 1-line block ×8, first 2 shown]
	v_lshl_add_u32 v4, v108, 8, v214
	v_add_f64 v[58:59], v[182:183], v[227:228]
	v_add_f64 v[20:21], v[184:185], v[70:71]
	;; [unrolled: 1-line block ×3, first 2 shown]
	ds_write_b128 v4, v[14:17]
	ds_write_b128 v4, v[10:13] offset:16
	ds_write_b128 v4, v[6:9] offset:32
	;; [unrolled: 1-line block ×16, first 2 shown]
.LBB0_19:
	s_or_b64 exec, exec, s[26:27]
	s_movk_i32 s2, 0xf1
	v_mul_lo_u16_sdwa v6, v108, s2 dst_sel:DWORD dst_unused:UNUSED_PAD src0_sel:BYTE_0 src1_sel:DWORD
	v_lshrrev_b16_e32 v71, 12, v6
	v_mul_lo_u16_e32 v7, 17, v71
	v_sub_u16_e32 v7, v108, v7
	v_mov_b32_e32 v73, 4
	v_add_u16_e32 v77, 0x66, v108
	v_lshlrev_b32_sdwa v107, v73, v7 dst_sel:DWORD dst_unused:UNUSED_PAD src0_sel:DWORD src1_sel:BYTE_0
	v_mul_lo_u16_sdwa v7, v77, s2 dst_sel:DWORD dst_unused:UNUSED_PAD src0_sel:BYTE_0 src1_sel:DWORD
	v_add_u32_e32 v76, 0xcc, v108
	v_lshrrev_b16_e32 v109, 12, v7
	s_mov_b32 s2, 0xf0f1
	v_mul_lo_u16_e32 v8, 17, v109
	v_mul_u32_u24_sdwa v80, v76, s2 dst_sel:DWORD dst_unused:UNUSED_PAD src0_sel:WORD_0 src1_sel:DWORD
	v_add_u32_e32 v75, 0x132, v108
	v_sub_u16_e32 v8, v77, v8
	v_lshrrev_b32_e32 v133, 20, v80
	v_lshlrev_b32_sdwa v132, v73, v8 dst_sel:DWORD dst_unused:UNUSED_PAD src0_sel:DWORD src1_sel:BYTE_0
	v_mul_lo_u16_e32 v8, 17, v133
	v_mul_u32_u24_sdwa v79, v75, s2 dst_sel:DWORD dst_unused:UNUSED_PAD src0_sel:WORD_0 src1_sel:DWORD
	v_add_u32_e32 v74, 0x198, v108
	v_sub_u16_e32 v8, v76, v8
	v_lshrrev_b32_e32 v135, 20, v79
	v_lshlrev_b32_e32 v134, 4, v8
	v_mul_lo_u16_e32 v8, 17, v135
	v_mul_u32_u24_sdwa v78, v74, s2 dst_sel:DWORD dst_unused:UNUSED_PAD src0_sel:WORD_0 src1_sel:DWORD
	v_sub_u16_e32 v8, v75, v8
	v_lshrrev_b32_e32 v137, 20, v78
	v_lshlrev_b32_e32 v136, 4, v8
	v_mul_lo_u16_e32 v8, 17, v137
	v_add_u32_e32 v72, 0x1fe, v108
	v_sub_u16_e32 v8, v74, v8
	s_waitcnt lgkmcnt(0)
	s_barrier
	global_load_dwordx4 v[11:14], v107, s[8:9]
	global_load_dwordx4 v[15:18], v132, s[8:9]
	v_lshlrev_b32_e32 v138, 4, v8
	v_mul_u32_u24_sdwa v8, v72, s2 dst_sel:DWORD dst_unused:UNUSED_PAD src0_sel:WORD_0 src1_sel:DWORD
	v_lshrrev_b32_e32 v139, 20, v8
	v_mul_lo_u16_e32 v9, 17, v139
	v_add_u32_e32 v5, 0x264, v108
	global_load_dwordx4 v[19:22], v134, s[8:9]
	global_load_dwordx4 v[23:26], v136, s[8:9]
	v_sub_u16_e32 v9, v72, v9
	v_lshlrev_b32_e32 v140, 4, v9
	v_mul_u32_u24_sdwa v9, v5, s2 dst_sel:DWORD dst_unused:UNUSED_PAD src0_sel:WORD_0 src1_sel:DWORD
	v_lshrrev_b32_e32 v141, 20, v9
	v_mul_lo_u16_e32 v10, 17, v141
	v_add_u32_e32 v4, 0x2ca, v108
	global_load_dwordx4 v[27:30], v138, s[8:9]
	global_load_dwordx4 v[31:34], v140, s[8:9]
	v_sub_u16_e32 v10, v5, v10
	v_lshlrev_b32_e32 v142, 4, v10
	v_mul_u32_u24_sdwa v10, v4, s2 dst_sel:DWORD dst_unused:UNUSED_PAD src0_sel:WORD_0 src1_sel:DWORD
	v_lshrrev_b32_e32 v143, 20, v10
	v_mul_lo_u16_e32 v35, 17, v143
	v_sub_u16_e32 v39, v4, v35
	global_load_dwordx4 v[35:38], v142, s[8:9]
	v_lshlrev_b32_e32 v144, 4, v39
	global_load_dwordx4 v[39:42], v144, s[8:9]
	ds_read_b128 v[43:46], v214
	ds_read_b128 v[47:50], v214 offset:1632
	ds_read_b128 v[51:54], v214 offset:13056
	;; [unrolled: 1-line block ×15, first 2 shown]
	v_mul_u32_u24_e32 v71, 0x220, v71
	v_add3_u32 v71, 0, v71, v107
	s_waitcnt vmcnt(0) lgkmcnt(0)
	s_barrier
	v_cmp_gt_u32_e32 vcc, 34, v108
	v_mul_f64 v[105:106], v[53:54], v[13:14]
	v_mul_f64 v[13:14], v[51:52], v[13:14]
	;; [unrolled: 1-line block ×8, first 2 shown]
	v_fma_f64 v[51:52], v[51:52], v[11:12], v[105:106]
	v_fma_f64 v[13:14], v[53:54], v[11:12], -v[13:14]
	v_fma_f64 v[53:54], v[55:56], v[15:16], v[124:125]
	v_fma_f64 v[17:18], v[57:58], v[15:16], -v[17:18]
	v_mul_f64 v[130:131], v[95:96], v[29:30]
	v_mul_f64 v[29:30], v[93:94], v[29:30]
	;; [unrolled: 1-line block ×4, first 2 shown]
	v_fma_f64 v[55:56], v[67:68], v[19:20], v[126:127]
	v_fma_f64 v[21:22], v[69:70], v[19:20], -v[21:22]
	v_fma_f64 v[57:58], v[81:82], v[23:24], v[128:129]
	v_fma_f64 v[25:26], v[83:84], v[23:24], -v[25:26]
	v_mul_f64 v[19:20], v[118:119], v[37:38]
	v_mul_f64 v[23:24], v[116:117], v[37:38]
	;; [unrolled: 1-line block ×4, first 2 shown]
	v_fma_f64 v[67:68], v[93:94], v[27:28], v[130:131]
	v_fma_f64 v[69:70], v[95:96], v[27:28], -v[29:30]
	v_fma_f64 v[81:82], v[97:98], v[31:32], v[11:12]
	v_add_f64 v[11:12], v[43:44], -v[51:52]
	v_add_f64 v[13:14], v[45:46], -v[13:14]
	v_fma_f64 v[83:84], v[99:100], v[31:32], -v[15:16]
	v_add_f64 v[15:16], v[47:48], -v[53:54]
	v_add_f64 v[17:18], v[49:50], -v[17:18]
	v_fma_f64 v[93:94], v[116:117], v[35:36], v[19:20]
	v_fma_f64 v[95:96], v[118:119], v[35:36], -v[23:24]
	v_add_f64 v[19:20], v[59:60], -v[55:56]
	v_add_f64 v[21:22], v[61:62], -v[21:22]
	v_fma_f64 v[97:98], v[120:121], v[39:40], v[33:34]
	v_fma_f64 v[99:100], v[122:123], v[39:40], -v[37:38]
	v_add_f64 v[23:24], v[63:64], -v[57:58]
	v_add_f64 v[25:26], v[65:66], -v[25:26]
	v_fma_f64 v[27:28], v[43:44], 2.0, -v[11:12]
	v_fma_f64 v[29:30], v[45:46], 2.0, -v[13:14]
	v_add_f64 v[43:44], v[85:86], -v[67:68]
	v_add_f64 v[45:46], v[87:88], -v[69:70]
	v_fma_f64 v[31:32], v[47:48], 2.0, -v[15:16]
	v_fma_f64 v[33:34], v[49:50], 2.0, -v[17:18]
	;; [unrolled: 4-line block ×5, first 2 shown]
	ds_write_b128 v71, v[27:30]
	ds_write_b128 v71, v[11:14] offset:272
	v_mul_u32_u24_e32 v11, 0x220, v109
	v_add3_u32 v11, 0, v11, v132
	v_fma_f64 v[63:64], v[89:90], 2.0, -v[47:48]
	v_fma_f64 v[65:66], v[91:92], 2.0, -v[49:50]
	ds_write_b128 v11, v[31:34]
	ds_write_b128 v11, v[15:18] offset:272
	v_mul_u32_u24_e32 v11, 0x220, v133
	v_add3_u32 v11, 0, v11, v134
	v_fma_f64 v[67:68], v[101:102], 2.0, -v[51:52]
	v_fma_f64 v[69:70], v[103:104], 2.0, -v[53:54]
	ds_write_b128 v11, v[35:38]
	ds_write_b128 v11, v[19:22] offset:272
	v_mul_u32_u24_e32 v11, 0x220, v135
	v_add3_u32 v11, 0, v11, v136
	v_lshrrev_b16_e32 v71, 13, v6
	v_fma_f64 v[81:82], v[112:113], 2.0, -v[55:56]
	v_fma_f64 v[83:84], v[114:115], 2.0, -v[57:58]
	ds_write_b128 v11, v[39:42]
	ds_write_b128 v11, v[23:26] offset:272
	v_mul_u32_u24_e32 v11, 0x220, v137
	v_mul_lo_u16_e32 v6, 34, v71
	v_add3_u32 v11, 0, v11, v138
	v_sub_u16_e32 v6, v108, v6
	v_lshrrev_b16_e32 v109, 13, v7
	ds_write_b128 v11, v[59:62]
	ds_write_b128 v11, v[43:46] offset:272
	v_mul_u32_u24_e32 v11, 0x220, v139
	v_lshlrev_b32_sdwa v107, v73, v6 dst_sel:DWORD dst_unused:UNUSED_PAD src0_sel:DWORD src1_sel:BYTE_0
	v_mul_lo_u16_e32 v6, 34, v109
	v_add3_u32 v11, 0, v11, v140
	v_sub_u16_e32 v6, v77, v6
	v_lshrrev_b32_e32 v125, 21, v80
	ds_write_b128 v11, v[63:66]
	ds_write_b128 v11, v[47:50] offset:272
	v_mul_u32_u24_e32 v11, 0x220, v141
	v_lshlrev_b32_sdwa v124, v73, v6 dst_sel:DWORD dst_unused:UNUSED_PAD src0_sel:DWORD src1_sel:BYTE_0
	v_mul_lo_u16_e32 v6, 34, v125
	v_add3_u32 v11, 0, v11, v142
	v_sub_u16_e32 v6, v76, v6
	v_lshrrev_b32_e32 v127, 21, v79
	ds_write_b128 v11, v[67:70]
	ds_write_b128 v11, v[51:54] offset:272
	v_mul_u32_u24_e32 v11, 0x220, v143
	v_lshlrev_b32_e32 v126, 4, v6
	v_mul_lo_u16_e32 v6, 34, v127
	v_add3_u32 v11, 0, v11, v144
	v_sub_u16_e32 v6, v75, v6
	ds_write_b128 v11, v[81:84]
	ds_write_b128 v11, v[55:58] offset:272
	s_waitcnt lgkmcnt(0)
	s_barrier
	global_load_dwordx4 v[11:14], v107, s[8:9] offset:272
	global_load_dwordx4 v[15:18], v124, s[8:9] offset:272
	v_lshlrev_b32_e32 v128, 4, v6
	global_load_dwordx4 v[19:22], v126, s[8:9] offset:272
	global_load_dwordx4 v[23:26], v128, s[8:9] offset:272
	v_lshrrev_b32_e32 v129, 21, v78
	v_mul_lo_u16_e32 v6, 34, v129
	v_sub_u16_e32 v6, v74, v6
	v_lshrrev_b32_e32 v131, 21, v8
	v_lshlrev_b32_e32 v130, 4, v6
	v_mul_lo_u16_e32 v6, 34, v131
	v_sub_u16_e32 v6, v72, v6
	v_lshrrev_b32_e32 v133, 21, v9
	v_lshlrev_b32_e32 v132, 4, v6
	global_load_dwordx4 v[27:30], v130, s[8:9] offset:272
	global_load_dwordx4 v[31:34], v132, s[8:9] offset:272
	v_mul_lo_u16_e32 v6, 34, v133
	v_sub_u16_e32 v5, v5, v6
	v_lshrrev_b32_e32 v135, 21, v10
	v_lshlrev_b32_e32 v134, 4, v5
	v_mul_lo_u16_e32 v5, 34, v135
	v_sub_u16_e32 v8, v4, v5
	global_load_dwordx4 v[4:7], v134, s[8:9] offset:272
	v_lshlrev_b32_e32 v136, 4, v8
	global_load_dwordx4 v[35:38], v136, s[8:9] offset:272
	ds_read_b128 v[39:42], v214
	ds_read_b128 v[43:46], v214 offset:1632
	ds_read_b128 v[47:50], v214 offset:13056
	;; [unrolled: 1-line block ×15, first 2 shown]
	s_waitcnt vmcnt(0) lgkmcnt(0)
	s_barrier
	v_mul_f64 v[8:9], v[49:50], v[13:14]
	v_mul_f64 v[13:14], v[47:48], v[13:14]
	;; [unrolled: 1-line block ×8, first 2 shown]
	v_fma_f64 v[8:9], v[47:48], v[11:12], v[8:9]
	v_fma_f64 v[10:11], v[49:50], v[11:12], -v[13:14]
	v_fma_f64 v[12:13], v[51:52], v[15:16], v[105:106]
	v_fma_f64 v[14:15], v[53:54], v[15:16], -v[17:18]
	;; [unrolled: 2-line block ×4, first 2 shown]
	v_mul_f64 v[24:25], v[91:92], v[29:30]
	v_mul_f64 v[29:30], v[89:90], v[29:30]
	;; [unrolled: 1-line block ×8, first 2 shown]
	v_fma_f64 v[53:54], v[89:90], v[27:28], v[24:25]
	v_fma_f64 v[63:64], v[91:92], v[27:28], -v[29:30]
	v_add_f64 v[8:9], v[39:40], -v[8:9]
	v_add_f64 v[10:11], v[41:42], -v[10:11]
	;; [unrolled: 1-line block ×3, first 2 shown]
	v_fma_f64 v[47:48], v[93:94], v[31:32], v[47:48]
	v_fma_f64 v[65:66], v[95:96], v[31:32], -v[33:34]
	v_add_f64 v[14:15], v[45:46], -v[14:15]
	v_fma_f64 v[49:50], v[112:113], v[4:5], v[49:50]
	v_fma_f64 v[4:5], v[114:115], v[4:5], -v[6:7]
	v_add_f64 v[16:17], v[55:56], -v[16:17]
	v_add_f64 v[18:19], v[57:58], -v[18:19]
	v_fma_f64 v[6:7], v[116:117], v[35:36], v[51:52]
	v_fma_f64 v[67:68], v[118:119], v[35:36], -v[37:38]
	v_add_f64 v[20:21], v[59:60], -v[20:21]
	v_add_f64 v[22:23], v[61:62], -v[22:23]
	v_fma_f64 v[24:25], v[39:40], 2.0, -v[8:9]
	v_fma_f64 v[26:27], v[41:42], 2.0, -v[10:11]
	;; [unrolled: 1-line block ×3, first 2 shown]
	v_add_f64 v[40:41], v[81:82], -v[53:54]
	v_add_f64 v[42:43], v[83:84], -v[63:64]
	v_fma_f64 v[30:31], v[45:46], 2.0, -v[14:15]
	v_add_f64 v[44:45], v[85:86], -v[47:48]
	v_add_f64 v[46:47], v[87:88], -v[65:66]
	v_fma_f64 v[32:33], v[55:56], 2.0, -v[16:17]
	v_fma_f64 v[34:35], v[57:58], 2.0, -v[18:19]
	v_add_f64 v[48:49], v[97:98], -v[49:50]
	v_add_f64 v[50:51], v[99:100], -v[4:5]
	v_fma_f64 v[36:37], v[59:60], 2.0, -v[20:21]
	v_fma_f64 v[38:39], v[61:62], 2.0, -v[22:23]
	v_add_f64 v[4:5], v[101:102], -v[6:7]
	v_add_f64 v[6:7], v[103:104], -v[67:68]
	v_mul_u32_u24_e32 v68, 0x440, v71
	v_add3_u32 v68, 0, v68, v107
	v_fma_f64 v[52:53], v[81:82], 2.0, -v[40:41]
	v_fma_f64 v[54:55], v[83:84], 2.0, -v[42:43]
	ds_write_b128 v68, v[24:27]
	ds_write_b128 v68, v[8:11] offset:544
	v_mul_u32_u24_e32 v8, 0x440, v109
	v_add3_u32 v8, 0, v8, v124
	v_fma_f64 v[56:57], v[85:86], 2.0, -v[44:45]
	v_fma_f64 v[58:59], v[87:88], 2.0, -v[46:47]
	ds_write_b128 v8, v[28:31]
	ds_write_b128 v8, v[12:15] offset:544
	;; [unrolled: 6-line block ×4, first 2 shown]
	v_mul_u32_u24_e32 v8, 0x440, v129
	v_add3_u32 v8, 0, v8, v130
	ds_write_b128 v8, v[52:55]
	ds_write_b128 v8, v[40:43] offset:544
	v_mul_u32_u24_e32 v8, 0x440, v131
	v_add3_u32 v8, 0, v8, v132
	ds_write_b128 v8, v[56:59]
	ds_write_b128 v8, v[44:47] offset:544
	v_mul_u32_u24_e32 v8, 0x440, v133
	v_add3_u32 v8, 0, v8, v134
	ds_write_b128 v8, v[60:63]
	ds_write_b128 v8, v[48:51] offset:544
	v_mul_u32_u24_e32 v8, 0x440, v135
	v_add3_u32 v8, 0, v8, v136
	ds_write_b128 v8, v[64:67]
	ds_write_b128 v8, v[4:7] offset:544
	s_waitcnt lgkmcnt(0)
	s_barrier
	ds_read_b128 v[28:31], v214
	ds_read_b128 v[24:27], v214 offset:1632
	ds_read_b128 v[36:39], v214 offset:17408
	;; [unrolled: 1-line block ×14, first 2 shown]
                                        ; implicit-def: $vgpr10_vgpr11
	s_and_saveexec_b64 s[2:3], vcc
	s_cbranch_execz .LBB0_21
; %bb.20:
	ds_read_b128 v[4:7], v214 offset:8160
	ds_read_b128 v[0:3], v214 offset:16864
	;; [unrolled: 1-line block ×3, first 2 shown]
.LBB0_21:
	s_or_b64 exec, exec, s[2:3]
	s_movk_i32 s2, 0x44
	v_add_u32_e32 v81, 0xffffffbc, v108
	v_cmp_gt_u32_e64 s[2:3], s2, v108
	v_cndmask_b32_e64 v107, v81, v108, s[2:3]
	v_lshlrev_b32_e32 v81, 1, v107
	v_mov_b32_e32 v82, 0
	v_lshlrev_b64 v[81:82], 4, v[81:82]
	v_lshrrev_b32_e32 v109, 22, v80
	v_mul_lo_u16_e32 v80, 0x44, v109
	v_mov_b32_e32 v83, s9
	v_add_co_u32_e64 v89, s[2:3], s8, v81
	v_sub_u16_e32 v140, v76, v80
	v_addc_co_u32_e64 v90, s[2:3], v83, v82, s[2:3]
	v_lshlrev_b32_e32 v76, 5, v140
	v_lshrrev_b32_e32 v141, 22, v79
	global_load_dwordx4 v[81:84], v[89:90], off offset:832
	global_load_dwordx4 v[85:88], v[89:90], off offset:816
	s_nop 0
	global_load_dwordx4 v[89:92], v76, s[8:9] offset:832
	global_load_dwordx4 v[93:96], v76, s[8:9] offset:816
	v_mul_lo_u16_e32 v76, 0x44, v141
	v_sub_u16_e32 v142, v75, v76
	v_lshlrev_b32_e32 v75, 5, v142
	v_lshrrev_b32_e32 v143, 22, v78
	global_load_dwordx4 v[97:100], v75, s[8:9] offset:832
	global_load_dwordx4 v[101:104], v75, s[8:9] offset:816
	v_mul_lo_u16_e32 v75, 0x44, v143
	v_sub_u16_e32 v144, v74, v75
	v_lshlrev_b32_e32 v74, 5, v144
	s_movk_i32 s2, 0x79
	global_load_dwordx4 v[112:115], v74, s[8:9] offset:832
	global_load_dwordx4 v[116:119], v74, s[8:9] offset:816
	v_mul_lo_u16_sdwa v74, v77, s2 dst_sel:DWORD dst_unused:UNUSED_PAD src0_sel:BYTE_0 src1_sel:DWORD
	v_lshrrev_b16_e32 v145, 13, v74
	v_mul_lo_u16_e32 v74, 0x44, v145
	v_sub_u16_e32 v146, v77, v74
	v_mov_b32_e32 v74, 5
	v_lshlrev_b32_sdwa v78, v74, v146 dst_sel:DWORD dst_unused:UNUSED_PAD src0_sel:DWORD src1_sel:BYTE_0
	global_load_dwordx4 v[74:77], v78, s[8:9] offset:816
	global_load_dwordx4 v[120:123], v78, s[8:9] offset:832
	s_mov_b32 s4, 0xe8584caa
	s_mov_b32 s5, 0xbfebb67a
	;; [unrolled: 1-line block ×4, first 2 shown]
	s_movk_i32 s2, 0x43
	v_cmp_lt_u32_e64 s[2:3], s2, v108
	s_waitcnt vmcnt(0) lgkmcnt(0)
	s_barrier
	v_mul_f64 v[134:135], v[38:39], v[83:84]
	v_mul_f64 v[105:106], v[62:63], v[91:92]
	;; [unrolled: 1-line block ×11, first 2 shown]
	v_fma_f64 v[48:49], v[48:49], v[93:94], v[78:79]
	v_fma_f64 v[60:61], v[60:61], v[89:90], v[105:106]
	;; [unrolled: 1-line block ×3, first 2 shown]
	v_fma_f64 v[46:47], v[46:47], v[85:86], -v[87:88]
	v_fma_f64 v[36:37], v[36:37], v[81:82], v[134:135]
	v_fma_f64 v[38:39], v[38:39], v[81:82], -v[83:84]
	v_mul_f64 v[103:104], v[68:69], v[103:104]
	v_mul_f64 v[136:137], v[42:43], v[76:77]
	;; [unrolled: 1-line block ×5, first 2 shown]
	v_fma_f64 v[50:51], v[50:51], v[93:94], -v[95:96]
	v_fma_f64 v[62:63], v[62:63], v[89:90], -v[91:92]
	v_fma_f64 v[68:69], v[68:69], v[101:102], v[124:125]
	v_fma_f64 v[78:79], v[52:53], v[97:98], v[126:127]
	;; [unrolled: 1-line block ×3, first 2 shown]
	v_fma_f64 v[42:43], v[42:43], v[74:75], -v[76:77]
	v_fma_f64 v[32:33], v[32:33], v[120:121], v[138:139]
	v_fma_f64 v[34:35], v[34:35], v[120:121], -v[122:123]
	v_fma_f64 v[89:90], v[54:55], v[97:98], -v[99:100]
	v_add_f64 v[54:55], v[48:49], v[60:61]
	v_add_f64 v[76:77], v[28:29], v[44:45]
	;; [unrolled: 1-line block ×3, first 2 shown]
	v_add_f64 v[82:83], v[46:47], -v[38:39]
	v_add_f64 v[84:85], v[30:31], v[46:47]
	v_add_f64 v[46:47], v[46:47], v[38:39]
	;; [unrolled: 1-line block ×3, first 2 shown]
	v_add_f64 v[97:98], v[42:43], -v[34:35]
	v_add_f64 v[99:100], v[26:27], v[42:43]
	v_add_f64 v[42:43], v[42:43], v[34:35]
	v_mul_f64 v[130:131], v[58:59], v[114:115]
	v_mul_f64 v[114:115], v[56:57], v[114:115]
	;; [unrolled: 1-line block ×4, first 2 shown]
	v_fma_f64 v[70:71], v[70:71], v[101:102], -v[103:104]
	v_add_f64 v[52:53], v[20:21], v[48:49]
	v_add_f64 v[74:75], v[68:69], v[78:79]
	v_add_f64 v[44:45], v[44:45], -v[36:37]
	v_add_f64 v[86:87], v[24:25], v[40:41]
	v_add_f64 v[101:102], v[40:41], -v[32:33]
	v_fma_f64 v[54:55], v[54:55], -0.5, v[20:21]
	v_fma_f64 v[20:21], v[80:81], -0.5, v[28:29]
	v_add_f64 v[28:29], v[76:77], v[36:37]
	v_fma_f64 v[40:41], v[46:47], -0.5, v[30:31]
	v_fma_f64 v[46:47], v[95:96], -0.5, v[24:25]
	;; [unrolled: 1-line block ×3, first 2 shown]
	v_fma_f64 v[93:94], v[58:59], v[112:113], -v[114:115]
	v_add_f64 v[58:59], v[50:51], v[62:63]
	v_fma_f64 v[66:67], v[66:67], v[116:117], -v[118:119]
	v_fma_f64 v[91:92], v[56:57], v[112:113], v[130:131]
	v_add_f64 v[56:57], v[50:51], -v[62:63]
	v_add_f64 v[30:31], v[84:85], v[38:39]
	v_add_f64 v[24:25], v[86:87], v[32:33]
	;; [unrolled: 1-line block ×3, first 2 shown]
	v_fma_f64 v[32:33], v[82:83], s[4:5], v[20:21]
	v_fma_f64 v[36:37], v[82:83], s[6:7], v[20:21]
	v_fma_f64 v[34:35], v[44:45], s[6:7], v[40:41]
	v_fma_f64 v[38:39], v[44:45], s[4:5], v[40:41]
	v_fma_f64 v[40:41], v[97:98], s[4:5], v[46:47]
	v_fma_f64 v[44:45], v[97:98], s[6:7], v[46:47]
	v_fma_f64 v[42:43], v[101:102], s[6:7], v[76:77]
	v_fma_f64 v[46:47], v[101:102], s[4:5], v[76:77]
	v_add_f64 v[76:77], v[48:49], -v[60:61]
	v_add_f64 v[20:21], v[52:53], v[60:61]
	v_add_f64 v[60:61], v[16:17], v[68:69]
	v_fma_f64 v[74:75], v[74:75], -0.5, v[16:17]
	v_add_f64 v[80:81], v[70:71], -v[89:90]
	v_add_f64 v[50:51], v[22:23], v[50:51]
	v_fma_f64 v[64:65], v[64:65], v[116:117], v[128:129]
	v_fma_f64 v[58:59], v[58:59], -0.5, v[22:23]
	v_fma_f64 v[48:49], v[56:57], s[4:5], v[54:55]
	v_fma_f64 v[52:53], v[56:57], s[6:7], v[54:55]
	v_add_f64 v[16:17], v[60:61], v[78:79]
	v_add_f64 v[68:69], v[68:69], -v[78:79]
	v_fma_f64 v[56:57], v[80:81], s[4:5], v[74:75]
	v_fma_f64 v[60:61], v[80:81], s[6:7], v[74:75]
	v_add_f64 v[74:75], v[66:67], v[93:94]
	v_add_f64 v[22:23], v[50:51], v[62:63]
	;; [unrolled: 1-line block ×3, first 2 shown]
	v_fma_f64 v[50:51], v[76:77], s[6:7], v[58:59]
	v_fma_f64 v[54:55], v[76:77], s[4:5], v[58:59]
	v_add_f64 v[58:59], v[64:65], v[91:92]
	v_add_f64 v[70:71], v[18:19], v[70:71]
	v_add_f64 v[80:81], v[66:67], -v[93:94]
	v_add_f64 v[66:67], v[14:15], v[66:67]
	v_fma_f64 v[74:75], v[74:75], -0.5, v[14:15]
	v_add_f64 v[82:83], v[64:65], -v[91:92]
	v_fma_f64 v[62:63], v[62:63], -0.5, v[18:19]
	v_add_f64 v[76:77], v[12:13], v[64:65]
	v_fma_f64 v[78:79], v[58:59], -0.5, v[12:13]
	v_add_f64 v[18:19], v[70:71], v[89:90]
	v_add_f64 v[14:15], v[66:67], v[93:94]
	v_fma_f64 v[66:67], v[82:83], s[6:7], v[74:75]
	v_fma_f64 v[70:71], v[82:83], s[4:5], v[74:75]
	v_mov_b32_e32 v74, 0xcc0
	v_cndmask_b32_e64 v74, 0, v74, s[2:3]
	v_lshlrev_b32_e32 v75, 4, v107
	v_fma_f64 v[58:59], v[68:69], s[6:7], v[62:63]
	v_add3_u32 v74, 0, v74, v75
	v_fma_f64 v[62:63], v[68:69], s[4:5], v[62:63]
	v_add_f64 v[12:13], v[76:77], v[91:92]
	ds_write_b128 v74, v[28:31]
	ds_write_b128 v74, v[32:35] offset:1088
	ds_write_b128 v74, v[36:39] offset:2176
	v_mul_u32_u24_e32 v28, 0xcc0, v145
	v_lshlrev_b32_sdwa v29, v73, v146 dst_sel:DWORD dst_unused:UNUSED_PAD src0_sel:DWORD src1_sel:BYTE_0
	v_fma_f64 v[64:65], v[80:81], s[4:5], v[78:79]
	v_add3_u32 v28, 0, v28, v29
	v_fma_f64 v[68:69], v[80:81], s[6:7], v[78:79]
	ds_write_b128 v28, v[24:27]
	ds_write_b128 v28, v[40:43] offset:1088
	ds_write_b128 v28, v[44:47] offset:2176
	v_mul_u32_u24_e32 v24, 0xcc0, v109
	v_lshlrev_b32_e32 v25, 4, v140
	v_add3_u32 v24, 0, v24, v25
	ds_write_b128 v24, v[20:23]
	ds_write_b128 v24, v[48:51] offset:1088
	ds_write_b128 v24, v[52:55] offset:2176
	v_mul_u32_u24_e32 v20, 0xcc0, v141
	v_lshlrev_b32_e32 v21, 4, v142
	v_add3_u32 v20, 0, v20, v21
	;; [unrolled: 6-line block ×3, first 2 shown]
	ds_write_b128 v16, v[12:15]
	ds_write_b128 v16, v[64:67] offset:1088
	ds_write_b128 v16, v[68:71] offset:2176
	s_and_saveexec_b64 s[2:3], vcc
	s_cbranch_execz .LBB0_23
; %bb.22:
	s_mov_b32 s10, 0xf0f1
	v_mul_u32_u24_sdwa v12, v72, s10 dst_sel:DWORD dst_unused:UNUSED_PAD src0_sel:WORD_0 src1_sel:DWORD
	v_lshrrev_b32_e32 v12, 22, v12
	v_mul_lo_u16_e32 v12, 0x44, v12
	v_sub_u16_e32 v24, v72, v12
	v_lshlrev_b32_e32 v20, 5, v24
	global_load_dwordx4 v[12:15], v20, s[8:9] offset:816
	global_load_dwordx4 v[16:19], v20, s[8:9] offset:832
	s_waitcnt vmcnt(1)
	v_mul_f64 v[20:21], v[0:1], v[14:15]
	s_waitcnt vmcnt(0)
	v_mul_f64 v[22:23], v[8:9], v[18:19]
	v_mul_f64 v[14:15], v[2:3], v[14:15]
	;; [unrolled: 1-line block ×3, first 2 shown]
	v_fma_f64 v[2:3], v[2:3], v[12:13], -v[20:21]
	v_fma_f64 v[10:11], v[10:11], v[16:17], -v[22:23]
	v_fma_f64 v[0:1], v[0:1], v[12:13], v[14:15]
	v_fma_f64 v[8:9], v[8:9], v[16:17], v[18:19]
	v_add_f64 v[18:19], v[6:7], v[2:3]
	v_add_f64 v[12:13], v[2:3], v[10:11]
	v_add_f64 v[20:21], v[2:3], -v[10:11]
	v_add_f64 v[14:15], v[0:1], v[8:9]
	v_add_f64 v[16:17], v[0:1], -v[8:9]
	v_add_f64 v[0:1], v[4:5], v[0:1]
	v_add_f64 v[2:3], v[18:19], v[10:11]
	v_fma_f64 v[12:13], v[12:13], -0.5, v[6:7]
	v_fma_f64 v[4:5], v[14:15], -0.5, v[4:5]
	v_add_f64 v[0:1], v[0:1], v[8:9]
	v_fma_f64 v[10:11], v[16:17], s[6:7], v[12:13]
	v_fma_f64 v[6:7], v[16:17], s[4:5], v[12:13]
	;; [unrolled: 1-line block ×4, first 2 shown]
	v_lshl_add_u32 v12, v24, 4, 0
	ds_write_b128 v12, v[0:3] offset:22848
	ds_write_b128 v12, v[8:11] offset:23936
	ds_write_b128 v12, v[4:7] offset:25024
.LBB0_23:
	s_or_b64 exec, exec, s[2:3]
	v_mul_u32_u24_e32 v0, 7, v108
	v_lshlrev_b32_e32 v28, 4, v0
	v_mov_b32_e32 v16, s9
	v_add_co_u32_e32 v29, vcc, s8, v28
	s_waitcnt lgkmcnt(0)
	s_barrier
	global_load_dwordx4 v[0:3], v28, s[8:9] offset:3008
	global_load_dwordx4 v[4:7], v28, s[8:9] offset:2992
	;; [unrolled: 1-line block ×4, first 2 shown]
	v_addc_co_u32_e32 v30, vcc, 0, v16, vcc
	global_load_dwordx4 v[16:19], v28, s[8:9] offset:3088
	global_load_dwordx4 v[20:23], v28, s[8:9] offset:3072
	;; [unrolled: 1-line block ×3, first 2 shown]
	s_movk_i32 s2, 0x2ca0
	v_add_co_u32_e32 v56, vcc, s2, v29
	v_addc_co_u32_e32 v57, vcc, 0, v30, vcc
	global_load_dwordx4 v[28:31], v[56:57], off offset:2992
	global_load_dwordx4 v[32:35], v[56:57], off offset:3008
	;; [unrolled: 1-line block ×7, first 2 shown]
	ds_read_b128 v[56:59], v214
	ds_read_b128 v[60:63], v214 offset:1632
	ds_read_b128 v[64:67], v214 offset:3264
	;; [unrolled: 1-line block ×15, first 2 shown]
	s_mov_b32 s2, 0x667f3bcd
	s_mov_b32 s3, 0xbfe6a09e
	;; [unrolled: 1-line block ×4, first 2 shown]
	s_waitcnt vmcnt(0) lgkmcnt(0)
	s_barrier
	v_mul_f64 v[126:127], v[74:75], v[2:3]
	v_mul_f64 v[124:125], v[66:67], v[6:7]
	;; [unrolled: 1-line block ×14, first 2 shown]
	v_fma_f64 v[64:65], v[64:65], v[4:5], v[124:125]
	v_fma_f64 v[4:5], v[66:67], v[4:5], -v[6:7]
	v_fma_f64 v[6:7], v[72:73], v[0:1], v[126:127]
	v_fma_f64 v[0:1], v[74:75], v[0:1], -v[2:3]
	;; [unrolled: 2-line block ×7, first 2 shown]
	v_mul_f64 v[138:139], v[70:71], v[30:31]
	v_mul_f64 v[30:31], v[68:69], v[30:31]
	;; [unrolled: 1-line block ×12, first 2 shown]
	v_add_f64 v[14:15], v[56:57], -v[14:15]
	v_add_f64 v[8:9], v[58:59], -v[8:9]
	v_add_f64 v[18:19], v[6:7], -v[26:27]
	v_add_f64 v[20:21], v[0:1], -v[20:21]
	v_add_f64 v[10:11], v[64:65], -v[10:11]
	v_add_f64 v[24:25], v[4:5], -v[24:25]
	v_add_f64 v[22:23], v[2:3], -v[22:23]
	v_add_f64 v[16:17], v[12:13], -v[16:17]
	v_fma_f64 v[66:67], v[68:69], v[28:29], v[138:139]
	v_fma_f64 v[28:29], v[70:71], v[28:29], -v[30:31]
	v_fma_f64 v[30:31], v[76:77], v[32:33], v[140:141]
	v_fma_f64 v[32:33], v[78:79], v[32:33], -v[34:35]
	v_fma_f64 v[34:35], v[84:85], v[36:37], v[142:143]
	v_fma_f64 v[36:37], v[86:87], v[36:37], -v[38:39]
	v_fma_f64 v[38:39], v[92:93], v[40:41], v[144:145]
	v_fma_f64 v[40:41], v[94:95], v[40:41], -v[42:43]
	v_fma_f64 v[42:43], v[100:101], v[44:45], v[146:147]
	v_fma_f64 v[44:45], v[102:103], v[44:45], -v[46:47]
	v_fma_f64 v[46:47], v[112:113], v[48:49], v[148:149]
	v_fma_f64 v[48:49], v[114:115], v[48:49], -v[50:51]
	v_fma_f64 v[26:27], v[56:57], 2.0, -v[14:15]
	v_fma_f64 v[50:51], v[58:59], 2.0, -v[8:9]
	;; [unrolled: 1-line block ×8, first 2 shown]
	v_add_f64 v[58:59], v[14:15], v[20:21]
	v_add_f64 v[64:65], v[8:9], -v[18:19]
	v_add_f64 v[68:69], v[10:11], v[16:17]
	v_add_f64 v[70:71], v[24:25], -v[22:23]
	v_add_f64 v[20:21], v[26:27], -v[6:7]
	;; [unrolled: 1-line block ×5, first 2 shown]
	v_fma_f64 v[18:19], v[14:15], 2.0, -v[58:59]
	v_fma_f64 v[72:73], v[8:9], 2.0, -v[64:65]
	;; [unrolled: 1-line block ×8, first 2 shown]
	v_mul_f64 v[26:27], v[122:123], v[54:55]
	v_mul_f64 v[50:51], v[120:121], v[54:55]
	v_fma_f64 v[4:5], v[6:7], s[2:3], v[18:19]
	v_fma_f64 v[10:11], v[8:9], s[2:3], v[72:73]
	v_add_f64 v[46:47], v[30:31], -v[46:47]
	v_add_f64 v[48:49], v[32:33], -v[48:49]
	;; [unrolled: 1-line block ×4, first 2 shown]
	v_fma_f64 v[26:27], v[120:121], v[52:53], v[26:27]
	v_fma_f64 v[50:51], v[122:123], v[52:53], -v[50:51]
	v_fma_f64 v[4:5], v[8:9], s[4:5], v[4:5]
	v_add_f64 v[8:9], v[20:21], v[12:13]
	v_add_f64 v[42:43], v[66:67], -v[42:43]
	v_add_f64 v[44:45], v[28:29], -v[44:45]
	v_fma_f64 v[12:13], v[14:15], 2.0, -v[0:1]
	v_fma_f64 v[14:15], v[24:25], 2.0, -v[2:3]
	v_add_f64 v[24:25], v[60:61], -v[38:39]
	v_add_f64 v[38:39], v[62:63], -v[40:41]
	;; [unrolled: 1-line block ×4, first 2 shown]
	v_fma_f64 v[6:7], v[6:7], s[2:3], v[10:11]
	v_fma_f64 v[30:31], v[30:31], 2.0, -v[46:47]
	v_fma_f64 v[32:33], v[32:33], 2.0, -v[48:49]
	;; [unrolled: 1-line block ×6, first 2 shown]
	v_add_f64 v[62:63], v[24:25], v[48:49]
	v_add_f64 v[66:67], v[38:39], -v[46:47]
	v_fma_f64 v[34:35], v[34:35], 2.0, -v[26:27]
	v_fma_f64 v[36:37], v[36:37], 2.0, -v[50:51]
	v_add_f64 v[46:47], v[42:43], v[50:51]
	v_add_f64 v[48:49], v[44:45], -v[26:27]
	v_add_f64 v[10:11], v[22:23], -v[16:17]
	v_fma_f64 v[16:17], v[18:19], 2.0, -v[4:5]
	v_fma_f64 v[18:19], v[72:73], 2.0, -v[6:7]
	v_fma_f64 v[40:41], v[68:69], s[4:5], v[58:59]
	v_fma_f64 v[52:53], v[70:71], s[4:5], v[64:65]
	v_add_f64 v[72:73], v[54:55], -v[30:31]
	v_add_f64 v[74:75], v[56:57], -v[32:33]
	v_fma_f64 v[76:77], v[24:25], 2.0, -v[62:63]
	v_fma_f64 v[78:79], v[38:39], 2.0, -v[66:67]
	v_add_f64 v[50:51], v[60:61], -v[34:35]
	v_add_f64 v[80:81], v[28:29], -v[36:37]
	v_fma_f64 v[38:39], v[42:43], 2.0, -v[46:47]
	v_fma_f64 v[36:37], v[44:45], 2.0, -v[48:49]
	v_fma_f64 v[24:25], v[70:71], s[4:5], v[40:41]
	v_fma_f64 v[26:27], v[68:69], s[2:3], v[52:53]
	v_fma_f64 v[52:53], v[54:55], 2.0, -v[72:73]
	v_fma_f64 v[54:55], v[56:57], 2.0, -v[74:75]
	v_fma_f64 v[32:33], v[60:61], 2.0, -v[50:51]
	v_fma_f64 v[34:35], v[28:29], 2.0, -v[80:81]
	v_fma_f64 v[40:41], v[38:39], s[2:3], v[76:77]
	v_fma_f64 v[42:43], v[36:37], s[2:3], v[78:79]
	;; [unrolled: 1-line block ×4, first 2 shown]
	v_fma_f64 v[20:21], v[20:21], 2.0, -v[8:9]
	v_fma_f64 v[22:23], v[22:23], 2.0, -v[10:11]
	v_add_f64 v[32:33], v[52:53], -v[32:33]
	v_add_f64 v[34:35], v[54:55], -v[34:35]
	v_fma_f64 v[36:37], v[36:37], s[4:5], v[40:41]
	v_fma_f64 v[38:39], v[38:39], s[2:3], v[42:43]
	v_add_f64 v[40:41], v[72:73], v[80:81]
	v_add_f64 v[42:43], v[74:75], -v[50:51]
	v_fma_f64 v[44:45], v[48:49], s[4:5], v[44:45]
	v_fma_f64 v[46:47], v[46:47], s[2:3], v[56:57]
	v_fma_f64 v[28:29], v[58:59], 2.0, -v[24:25]
	v_fma_f64 v[30:31], v[64:65], 2.0, -v[26:27]
	v_fma_f64 v[48:49], v[52:53], 2.0, -v[32:33]
	v_fma_f64 v[50:51], v[54:55], 2.0, -v[34:35]
	v_fma_f64 v[52:53], v[76:77], 2.0, -v[36:37]
	v_fma_f64 v[54:55], v[78:79], 2.0, -v[38:39]
	v_fma_f64 v[56:57], v[72:73], 2.0, -v[40:41]
	v_fma_f64 v[58:59], v[74:75], 2.0, -v[42:43]
	v_fma_f64 v[60:61], v[62:63], 2.0, -v[44:45]
	v_fma_f64 v[62:63], v[66:67], 2.0, -v[46:47]
	ds_write_b128 v214, v[12:15]
	ds_write_b128 v214, v[16:19] offset:3264
	ds_write_b128 v214, v[20:23] offset:6528
	ds_write_b128 v214, v[28:31] offset:9792
	ds_write_b128 v214, v[0:3] offset:13056
	ds_write_b128 v214, v[4:7] offset:16320
	ds_write_b128 v214, v[8:11] offset:19584
	ds_write_b128 v214, v[24:27] offset:22848
	ds_write_b128 v214, v[48:51] offset:1632
	ds_write_b128 v214, v[52:55] offset:4896
	ds_write_b128 v214, v[56:59] offset:8160
	ds_write_b128 v214, v[60:63] offset:11424
	ds_write_b128 v214, v[32:35] offset:14688
	ds_write_b128 v214, v[36:39] offset:17952
	ds_write_b128 v214, v[40:43] offset:21216
	ds_write_b128 v214, v[44:47] offset:24480
	s_waitcnt lgkmcnt(0)
	s_barrier
	s_and_saveexec_b64 s[2:3], s[0:1]
	s_cbranch_execz .LBB0_25
; %bb.24:
	v_lshl_add_u32 v10, v108, 4, 0
	v_mov_b32_e32 v109, 0
	ds_read_b128 v[0:3], v10
	v_mov_b32_e32 v4, s13
	v_add_co_u32_e32 v11, vcc, s12, v110
	v_addc_co_u32_e32 v12, vcc, v4, v111, vcc
	v_lshlrev_b64 v[4:5], 4, v[108:109]
	v_add_co_u32_e32 v8, vcc, v11, v4
	v_addc_co_u32_e32 v9, vcc, v12, v5, vcc
	ds_read_b128 v[4:7], v10 offset:1632
	s_waitcnt lgkmcnt(1)
	global_store_dwordx4 v[8:9], v[0:3], off
	s_nop 0
	v_add_u32_e32 v0, 0x66, v108
	v_mov_b32_e32 v1, v109
	v_lshlrev_b64 v[0:1], 4, v[0:1]
	v_add_co_u32_e32 v0, vcc, v11, v0
	v_addc_co_u32_e32 v1, vcc, v12, v1, vcc
	s_waitcnt lgkmcnt(0)
	global_store_dwordx4 v[0:1], v[4:7], off
	ds_read_b128 v[0:3], v10 offset:3264
	v_add_u32_e32 v4, 0xcc, v108
	v_mov_b32_e32 v5, v109
	v_lshlrev_b64 v[4:5], 4, v[4:5]
	v_add_co_u32_e32 v8, vcc, v11, v4
	v_addc_co_u32_e32 v9, vcc, v12, v5, vcc
	ds_read_b128 v[4:7], v10 offset:4896
	s_waitcnt lgkmcnt(1)
	global_store_dwordx4 v[8:9], v[0:3], off
	s_nop 0
	v_add_u32_e32 v0, 0x132, v108
	v_mov_b32_e32 v1, v109
	v_lshlrev_b64 v[0:1], 4, v[0:1]
	v_add_co_u32_e32 v0, vcc, v11, v0
	v_addc_co_u32_e32 v1, vcc, v12, v1, vcc
	s_waitcnt lgkmcnt(0)
	global_store_dwordx4 v[0:1], v[4:7], off
	ds_read_b128 v[0:3], v10 offset:6528
	v_add_u32_e32 v4, 0x198, v108
	v_mov_b32_e32 v5, v109
	;; [unrolled: 17-line block ×7, first 2 shown]
	v_lshlrev_b64 v[4:5], 4, v[4:5]
	v_add_u32_e32 v108, 0x5fa, v108
	v_add_co_u32_e32 v8, vcc, v11, v4
	v_addc_co_u32_e32 v9, vcc, v12, v5, vcc
	ds_read_b128 v[4:7], v10 offset:24480
	s_waitcnt lgkmcnt(1)
	global_store_dwordx4 v[8:9], v[0:3], off
	s_nop 0
	v_lshlrev_b64 v[0:1], 4, v[108:109]
	v_add_co_u32_e32 v0, vcc, v11, v0
	v_addc_co_u32_e32 v1, vcc, v12, v1, vcc
	s_waitcnt lgkmcnt(0)
	global_store_dwordx4 v[0:1], v[4:7], off
.LBB0_25:
	s_endpgm
	.section	.rodata,"a",@progbits
	.p2align	6, 0x0
	.amdhsa_kernel fft_rtc_back_len1632_factors_17_2_2_3_8_wgs_102_tpt_102_halfLds_dp_ip_CI_unitstride_sbrr_C2R_dirReg
		.amdhsa_group_segment_fixed_size 0
		.amdhsa_private_segment_fixed_size 0
		.amdhsa_kernarg_size 88
		.amdhsa_user_sgpr_count 6
		.amdhsa_user_sgpr_private_segment_buffer 1
		.amdhsa_user_sgpr_dispatch_ptr 0
		.amdhsa_user_sgpr_queue_ptr 0
		.amdhsa_user_sgpr_kernarg_segment_ptr 1
		.amdhsa_user_sgpr_dispatch_id 0
		.amdhsa_user_sgpr_flat_scratch_init 0
		.amdhsa_user_sgpr_private_segment_size 0
		.amdhsa_uses_dynamic_stack 0
		.amdhsa_system_sgpr_private_segment_wavefront_offset 0
		.amdhsa_system_sgpr_workgroup_id_x 1
		.amdhsa_system_sgpr_workgroup_id_y 0
		.amdhsa_system_sgpr_workgroup_id_z 0
		.amdhsa_system_sgpr_workgroup_info 0
		.amdhsa_system_vgpr_workitem_id 0
		.amdhsa_next_free_vgpr 255
		.amdhsa_next_free_sgpr 56
		.amdhsa_reserve_vcc 1
		.amdhsa_reserve_flat_scratch 0
		.amdhsa_float_round_mode_32 0
		.amdhsa_float_round_mode_16_64 0
		.amdhsa_float_denorm_mode_32 3
		.amdhsa_float_denorm_mode_16_64 3
		.amdhsa_dx10_clamp 1
		.amdhsa_ieee_mode 1
		.amdhsa_fp16_overflow 0
		.amdhsa_exception_fp_ieee_invalid_op 0
		.amdhsa_exception_fp_denorm_src 0
		.amdhsa_exception_fp_ieee_div_zero 0
		.amdhsa_exception_fp_ieee_overflow 0
		.amdhsa_exception_fp_ieee_underflow 0
		.amdhsa_exception_fp_ieee_inexact 0
		.amdhsa_exception_int_div_zero 0
	.end_amdhsa_kernel
	.text
.Lfunc_end0:
	.size	fft_rtc_back_len1632_factors_17_2_2_3_8_wgs_102_tpt_102_halfLds_dp_ip_CI_unitstride_sbrr_C2R_dirReg, .Lfunc_end0-fft_rtc_back_len1632_factors_17_2_2_3_8_wgs_102_tpt_102_halfLds_dp_ip_CI_unitstride_sbrr_C2R_dirReg
                                        ; -- End function
	.section	.AMDGPU.csdata,"",@progbits
; Kernel info:
; codeLenInByte = 16216
; NumSgprs: 60
; NumVgprs: 255
; ScratchSize: 0
; MemoryBound: 0
; FloatMode: 240
; IeeeMode: 1
; LDSByteSize: 0 bytes/workgroup (compile time only)
; SGPRBlocks: 7
; VGPRBlocks: 63
; NumSGPRsForWavesPerEU: 60
; NumVGPRsForWavesPerEU: 255
; Occupancy: 1
; WaveLimiterHint : 1
; COMPUTE_PGM_RSRC2:SCRATCH_EN: 0
; COMPUTE_PGM_RSRC2:USER_SGPR: 6
; COMPUTE_PGM_RSRC2:TRAP_HANDLER: 0
; COMPUTE_PGM_RSRC2:TGID_X_EN: 1
; COMPUTE_PGM_RSRC2:TGID_Y_EN: 0
; COMPUTE_PGM_RSRC2:TGID_Z_EN: 0
; COMPUTE_PGM_RSRC2:TIDIG_COMP_CNT: 0
	.type	__hip_cuid_5f5dd535542b3eaf,@object ; @__hip_cuid_5f5dd535542b3eaf
	.section	.bss,"aw",@nobits
	.globl	__hip_cuid_5f5dd535542b3eaf
__hip_cuid_5f5dd535542b3eaf:
	.byte	0                               ; 0x0
	.size	__hip_cuid_5f5dd535542b3eaf, 1

	.ident	"AMD clang version 19.0.0git (https://github.com/RadeonOpenCompute/llvm-project roc-6.4.0 25133 c7fe45cf4b819c5991fe208aaa96edf142730f1d)"
	.section	".note.GNU-stack","",@progbits
	.addrsig
	.addrsig_sym __hip_cuid_5f5dd535542b3eaf
	.amdgpu_metadata
---
amdhsa.kernels:
  - .args:
      - .actual_access:  read_only
        .address_space:  global
        .offset:         0
        .size:           8
        .value_kind:     global_buffer
      - .offset:         8
        .size:           8
        .value_kind:     by_value
      - .actual_access:  read_only
        .address_space:  global
        .offset:         16
        .size:           8
        .value_kind:     global_buffer
      - .actual_access:  read_only
        .address_space:  global
        .offset:         24
        .size:           8
        .value_kind:     global_buffer
      - .offset:         32
        .size:           8
        .value_kind:     by_value
      - .actual_access:  read_only
        .address_space:  global
        .offset:         40
        .size:           8
        .value_kind:     global_buffer
      - .actual_access:  read_only
        .address_space:  global
        .offset:         48
        .size:           8
        .value_kind:     global_buffer
      - .offset:         56
        .size:           4
        .value_kind:     by_value
      - .actual_access:  read_only
        .address_space:  global
        .offset:         64
        .size:           8
        .value_kind:     global_buffer
      - .actual_access:  read_only
        .address_space:  global
        .offset:         72
        .size:           8
        .value_kind:     global_buffer
      - .address_space:  global
        .offset:         80
        .size:           8
        .value_kind:     global_buffer
    .group_segment_fixed_size: 0
    .kernarg_segment_align: 8
    .kernarg_segment_size: 88
    .language:       OpenCL C
    .language_version:
      - 2
      - 0
    .max_flat_workgroup_size: 102
    .name:           fft_rtc_back_len1632_factors_17_2_2_3_8_wgs_102_tpt_102_halfLds_dp_ip_CI_unitstride_sbrr_C2R_dirReg
    .private_segment_fixed_size: 0
    .sgpr_count:     60
    .sgpr_spill_count: 0
    .symbol:         fft_rtc_back_len1632_factors_17_2_2_3_8_wgs_102_tpt_102_halfLds_dp_ip_CI_unitstride_sbrr_C2R_dirReg.kd
    .uniform_work_group_size: 1
    .uses_dynamic_stack: false
    .vgpr_count:     255
    .vgpr_spill_count: 0
    .wavefront_size: 64
amdhsa.target:   amdgcn-amd-amdhsa--gfx906
amdhsa.version:
  - 1
  - 2
...

	.end_amdgpu_metadata
